;; amdgpu-corpus repo=ROCm/rocFFT kind=compiled arch=gfx1201 opt=O3
	.text
	.amdgcn_target "amdgcn-amd-amdhsa--gfx1201"
	.amdhsa_code_object_version 6
	.protected	bluestein_single_fwd_len1188_dim1_half_op_CI_CI ; -- Begin function bluestein_single_fwd_len1188_dim1_half_op_CI_CI
	.globl	bluestein_single_fwd_len1188_dim1_half_op_CI_CI
	.p2align	8
	.type	bluestein_single_fwd_len1188_dim1_half_op_CI_CI,@function
bluestein_single_fwd_len1188_dim1_half_op_CI_CI: ; @bluestein_single_fwd_len1188_dim1_half_op_CI_CI
; %bb.0:
	s_load_b128 s[16:19], s[0:1], 0x28
	v_mul_u32_u24_e32 v1, 0x3e1, v0
	s_mov_b32 s2, exec_lo
	s_delay_alu instid0(VALU_DEP_1) | instskip(NEXT) | instid1(VALU_DEP_1)
	v_lshrrev_b32_e32 v1, 16, v1
	v_mad_co_u64_u32 v[16:17], null, ttmp9, 3, v[1:2]
	v_mov_b32_e32 v17, 0
                                        ; kill: def $vgpr2 killed $sgpr0 killed $exec
	s_wait_kmcnt 0x0
	s_delay_alu instid0(VALU_DEP_1)
	v_cmpx_gt_u64_e64 s[16:17], v[16:17]
	s_cbranch_execz .LBB0_10
; %bb.1:
	s_clause 0x1
	s_load_b128 s[4:7], s[0:1], 0x18
	s_load_b128 s[8:11], s[0:1], 0x0
	v_mul_lo_u16 v1, 0x42, v1
                                        ; implicit-def: $vgpr63
                                        ; implicit-def: $vgpr61
                                        ; implicit-def: $vgpr115
                                        ; implicit-def: $vgpr57
                                        ; implicit-def: $vgpr58
	s_delay_alu instid0(VALU_DEP_1) | instskip(NEXT) | instid1(VALU_DEP_1)
	v_sub_nc_u16 v0, v0, v1
	v_and_b32_e32 v91, 0xffff, v0
	v_mul_lo_u16 v22, v0, 6
	s_wait_kmcnt 0x0
	s_load_b128 s[12:15], s[4:5], 0x0
	s_wait_kmcnt 0x0
	v_mad_co_u64_u32 v[1:2], null, s14, v16, 0
	v_mad_co_u64_u32 v[3:4], null, s12, v91, 0
	s_mul_u64 s[2:3], s[12:13], 0x318
	s_mul_i32 s4, s13, 0xfffff190
	s_delay_alu instid0(SALU_CYCLE_1) | instskip(NEXT) | instid1(VALU_DEP_1)
	s_sub_co_i32 s4, s4, s12
	v_mad_co_u64_u32 v[5:6], null, s15, v16, v[2:3]
	s_delay_alu instid0(VALU_DEP_1) | instskip(NEXT) | instid1(VALU_DEP_3)
	v_mov_b32_e32 v2, v5
	v_mad_co_u64_u32 v[6:7], null, s13, v91, v[4:5]
	v_lshlrev_b32_e32 v47, 2, v91
	v_add_co_u32 v46, null, 0x42, v91
	s_delay_alu instid0(VALU_DEP_4) | instskip(NEXT) | instid1(VALU_DEP_4)
	v_lshlrev_b64_e32 v[1:2], 2, v[1:2]
	v_mov_b32_e32 v4, v6
	s_clause 0x9
	global_load_b32 v96, v47, s[8:9]
	global_load_b32 v84, v47, s[8:9] offset:264
	global_load_b32 v81, v47, s[8:9] offset:1848
	;; [unrolled: 1-line block ×9, first 2 shown]
	v_add_co_u32 v1, vcc_lo, s18, v1
	v_lshlrev_b64_e32 v[3:4], 2, v[3:4]
	v_add_co_ci_u32_e32 v2, vcc_lo, s19, v2, vcc_lo
	s_clause 0x7
	global_load_b32 v77, v47, s[8:9] offset:3432
	global_load_b32 v89, v47, s[8:9] offset:3168
	;; [unrolled: 1-line block ×8, first 2 shown]
	v_add_co_u32 v1, vcc_lo, v1, v3
	s_wait_alu 0xfffd
	v_add_co_ci_u32_e32 v2, vcc_lo, v2, v4, vcc_lo
	s_delay_alu instid0(VALU_DEP_2) | instskip(SKIP_1) | instid1(VALU_DEP_2)
	v_add_co_u32 v3, vcc_lo, v1, s2
	s_wait_alu 0xfffd
	v_add_co_ci_u32_e32 v4, vcc_lo, s3, v2, vcc_lo
	s_clause 0x1
	global_load_b32 v7, v[1:2], off
	global_load_b32 v8, v[3:4], off
	v_add_co_u32 v1, vcc_lo, v3, s2
	s_wait_alu 0xfffd
	v_add_co_ci_u32_e32 v2, vcc_lo, s3, v4, vcc_lo
	s_delay_alu instid0(VALU_DEP_2) | instskip(SKIP_1) | instid1(VALU_DEP_2)
	v_add_co_u32 v3, vcc_lo, v1, s2
	s_wait_alu 0xfffd
	v_add_co_ci_u32_e32 v4, vcc_lo, s3, v2, vcc_lo
	s_clause 0x1
	global_load_b32 v9, v[1:2], off
	global_load_b32 v10, v[3:4], off
	v_add_co_u32 v1, vcc_lo, v3, s2
	s_wait_alu 0xfffd
	v_add_co_ci_u32_e32 v2, vcc_lo, s3, v4, vcc_lo
	s_delay_alu instid0(VALU_DEP_2) | instskip(SKIP_1) | instid1(VALU_DEP_2)
	v_add_co_u32 v5, vcc_lo, v1, s2
	s_wait_alu 0xfffd
	v_add_co_ci_u32_e32 v6, vcc_lo, s3, v2, vcc_lo
	global_load_b32 v11, v[1:2], off
	global_load_b32 v12, v[5:6], off
	v_mad_co_u64_u32 v[3:4], null, 0xfffff190, s12, v[5:6]
	s_delay_alu instid0(VALU_DEP_1) | instskip(NEXT) | instid1(VALU_DEP_2)
	v_add_nc_u32_e32 v4, s4, v4
	v_add_co_u32 v1, vcc_lo, v3, s2
	s_wait_alu 0xfffd
	s_delay_alu instid0(VALU_DEP_2)
	v_add_co_ci_u32_e32 v2, vcc_lo, s3, v4, vcc_lo
	global_load_b32 v13, v[3:4], off
	v_add_co_u32 v3, vcc_lo, v1, s2
	s_wait_alu 0xfffd
	v_add_co_ci_u32_e32 v4, vcc_lo, s3, v2, vcc_lo
	global_load_b32 v14, v[1:2], off
	v_add_co_u32 v1, vcc_lo, v3, s2
	s_wait_alu 0xfffd
	;; [unrolled: 4-line block ×4, first 2 shown]
	v_add_co_ci_u32_e32 v4, vcc_lo, s3, v6, vcc_lo
	global_load_b32 v5, v[5:6], off
	v_mad_co_u64_u32 v[1:2], null, 0xfffff190, s12, v[3:4]
	s_delay_alu instid0(VALU_DEP_1)
	v_add_nc_u32_e32 v2, s4, v2
	global_load_b32 v6, v[3:4], off
	global_load_b32 v18, v[1:2], off
	v_add_co_u32 v1, vcc_lo, v1, s2
	s_wait_alu 0xfffd
	v_add_co_ci_u32_e32 v2, vcc_lo, s3, v2, vcc_lo
	s_delay_alu instid0(VALU_DEP_2) | instskip(SKIP_1) | instid1(VALU_DEP_2)
	v_add_co_u32 v3, vcc_lo, v1, s2
	s_wait_alu 0xfffd
	v_add_co_ci_u32_e32 v4, vcc_lo, s3, v2, vcc_lo
	global_load_b32 v19, v[1:2], off
	v_add_co_u32 v1, vcc_lo, v3, s2
	s_wait_alu 0xfffd
	v_add_co_ci_u32_e32 v2, vcc_lo, s3, v4, vcc_lo
	global_load_b32 v20, v[3:4], off
	;; [unrolled: 4-line block ×4, first 2 shown]
	global_load_b32 v4, v[1:2], off
	v_mul_hi_u32 v1, 0xaaaaaaab, v16
	s_load_b128 s[4:7], s[6:7], 0x0
	s_load_b64 s[2:3], s[0:1], 0x38
	v_cmp_gt_u16_e32 vcc_lo, 42, v0
	s_delay_alu instid0(VALU_DEP_2) | instskip(NEXT) | instid1(VALU_DEP_1)
	v_lshrrev_b32_e32 v1, 1, v1
	v_lshl_add_u32 v1, v1, 1, v1
	s_delay_alu instid0(VALU_DEP_1) | instskip(NEXT) | instid1(VALU_DEP_1)
	v_sub_nc_u32_e32 v1, v16, v1
	v_mul_u32_u24_e32 v48, 0x4a4, v1
	s_delay_alu instid0(VALU_DEP_1) | instskip(NEXT) | instid1(VALU_DEP_1)
	v_lshlrev_b32_e32 v102, 2, v48
	v_add_nc_u32_e32 v99, v47, v102
	s_delay_alu instid0(VALU_DEP_1)
	v_add_nc_u32_e32 v2, 0x400, v99
	v_add_nc_u32_e32 v31, 0xc00, v99
	;; [unrolled: 1-line block ×5, first 2 shown]
	s_wait_loadcnt 0x23
	v_lshrrev_b32_e32 v101, 16, v96
	s_wait_loadcnt 0x22
	v_lshrrev_b32_e32 v45, 16, v84
	;; [unrolled: 2-line block ×3, first 2 shown]
	v_lshrrev_b32_e32 v98, 16, v94
	s_wait_loadcnt 0x1b
	v_lshrrev_b32_e32 v33, 16, v87
	v_lshrrev_b32_e32 v44, 16, v83
	;; [unrolled: 1-line block ×5, first 2 shown]
	s_wait_loadcnt 0x19
	v_lshrrev_b32_e32 v41, 16, v77
	s_wait_loadcnt 0x18
	v_lshrrev_b32_e32 v32, 16, v89
	;; [unrolled: 2-line block ×3, first 2 shown]
	v_lshrrev_b32_e32 v42, 16, v79
	s_wait_loadcnt 0x13
	v_lshrrev_b32_e32 v40, 16, v75
	v_lshrrev_b32_e32 v37, 16, v69
	;; [unrolled: 1-line block ×4, first 2 shown]
	s_wait_loadcnt 0x12
	v_lshrrev_b32_e32 v34, 16, v64
	s_wait_loadcnt 0x11
	v_lshrrev_b32_e32 v24, 16, v7
	v_mul_f16_e32 v26, v101, v7
	s_wait_loadcnt 0x10
	v_lshrrev_b32_e32 v28, 16, v8
	v_mul_f16_e32 v29, v100, v8
	v_mul_f16_e32 v27, v101, v24
	v_fma_f16 v24, v96, v24, -v26
	s_delay_alu instid0(VALU_DEP_2)
	v_fmac_f16_e32 v27, v96, v7
	v_mul_f16_e32 v7, v100, v28
	v_fma_f16 v28, v97, v28, -v29
	s_wait_loadcnt 0xf
	v_lshrrev_b32_e32 v26, 16, v9
	v_mul_f16_e32 v29, v98, v9
	v_pack_b32_f16 v24, v27, v24
	v_fmac_f16_e32 v7, v97, v8
	s_wait_loadcnt 0xe
	v_lshrrev_b32_e32 v27, 16, v10
	v_mul_f16_e32 v8, v98, v26
	v_fma_f16 v26, v94, v26, -v29
	v_mul_f16_e32 v29, v95, v10
	v_pack_b32_f16 v7, v7, v28
	s_delay_alu instid0(VALU_DEP_4) | instskip(SKIP_1) | instid1(VALU_DEP_4)
	v_fmac_f16_e32 v8, v94, v9
	v_mul_f16_e32 v9, v95, v27
	v_fma_f16 v27, v92, v27, -v29
	s_wait_loadcnt 0xd
	v_lshrrev_b32_e32 v28, 16, v11
	s_wait_loadcnt 0xc
	v_lshrrev_b32_e32 v29, 16, v12
	v_mul_f16_e32 v30, v32, v11
	v_pack_b32_f16 v8, v8, v26
	v_fmac_f16_e32 v9, v92, v10
	v_mul_f16_e32 v26, v32, v28
	v_mul_f16_e32 v32, v33, v12
	v_mul_f16_e32 v33, v33, v29
	v_fma_f16 v10, v89, v28, -v30
	v_pack_b32_f16 v9, v9, v27
	v_fmac_f16_e32 v26, v89, v11
	v_fma_f16 v11, v87, v29, -v32
	v_fmac_f16_e32 v33, v87, v12
	s_delay_alu instid0(VALU_DEP_3)
	v_pack_b32_f16 v10, v26, v10
	s_wait_loadcnt 0xb
	v_lshrrev_b32_e32 v12, 16, v13
	v_mul_f16_e32 v28, v45, v13
	v_pack_b32_f16 v11, v33, v11
	ds_store_b32 v99, v7 offset:792
	ds_store_b32 v99, v8 offset:1584
	;; [unrolled: 1-line block ×5, first 2 shown]
	v_mul_f16_e32 v26, v45, v12
	v_fma_f16 v12, v84, v12, -v28
	s_wait_loadcnt 0xa
	v_lshrrev_b32_e32 v27, 16, v14
	v_mul_f16_e32 v28, v44, v14
	v_add_co_u32 v45, null, 0x84, v91
	v_fmac_f16_e32 v26, v84, v13
	s_wait_loadcnt 0x9
	v_lshrrev_b32_e32 v8, 16, v15
	v_mul_f16_e32 v7, v44, v27
	v_mul_f16_e32 v9, v43, v15
	v_fma_f16 v10, v83, v27, -v28
	v_pack_b32_f16 v11, v26, v12
	v_mul_f16_e32 v12, v43, v8
	v_fmac_f16_e32 v7, v83, v14
	v_fma_f16 v8, v81, v8, -v9
	s_wait_loadcnt 0x8
	v_lshrrev_b32_e32 v9, 16, v17
	v_mul_f16_e32 v13, v42, v17
	ds_store_2addr_b32 v99, v24, v11 offset1:66
	v_fmac_f16_e32 v12, v81, v15
	s_wait_loadcnt 0x7
	v_lshrrev_b32_e32 v11, 16, v5
	v_pack_b32_f16 v7, v7, v10
	v_mul_f16_e32 v10, v42, v9
	v_fma_f16 v9, v79, v9, -v13
	v_mul_f16_e32 v13, v41, v5
	v_pack_b32_f16 v8, v12, v8
	v_mul_f16_e32 v14, v41, v11
	v_fmac_f16_e32 v10, v79, v17
                                        ; implicit-def: $vgpr44
	s_delay_alu instid0(VALU_DEP_4)
	v_fma_f16 v11, v77, v11, -v13
	s_wait_loadcnt 0x6
	v_lshrrev_b32_e32 v12, 16, v6
	v_mul_f16_e32 v13, v40, v6
	v_fmac_f16_e32 v14, v77, v5
	s_wait_loadcnt 0x5
	v_lshrrev_b32_e32 v5, 16, v18
	v_pack_b32_f16 v9, v10, v9
	v_mul_f16_e32 v15, v40, v12
	v_fma_f16 v10, v75, v12, -v13
	v_pack_b32_f16 v11, v14, v11
	v_mul_f16_e32 v12, v39, v5
	s_delay_alu instid0(VALU_DEP_4)
	v_fmac_f16_e32 v15, v75, v6
	v_mul_f16_e32 v6, v39, v18
	s_wait_loadcnt 0x4
	v_lshrrev_b32_e32 v13, 16, v19
	v_fmac_f16_e32 v12, v73, v18
	v_pack_b32_f16 v10, v15, v10
	v_fma_f16 v5, v73, v5, -v6
	v_mul_f16_e32 v6, v38, v19
	s_wait_loadcnt 0x3
	v_lshrrev_b32_e32 v15, 16, v20
	v_mul_f16_e32 v17, v37, v20
	v_mul_f16_e32 v14, v38, v13
	v_pack_b32_f16 v5, v12, v5
	v_fma_f16 v6, v71, v13, -v6
	v_mul_f16_e32 v12, v37, v15
	v_fma_f16 v13, v69, v15, -v17
	s_wait_loadcnt 0x2
	v_lshrrev_b32_e32 v15, 16, v21
	v_mul_f16_e32 v17, v36, v21
	ds_store_b32 v99, v5 offset:528
	s_wait_loadcnt 0x1
	v_lshrrev_b32_e32 v5, 16, v3
	v_fmac_f16_e32 v14, v71, v19
	s_wait_loadcnt 0x0
	v_lshrrev_b32_e32 v19, 16, v4
	v_mul_f16_e32 v18, v36, v15
	v_fmac_f16_e32 v12, v69, v20
	v_fma_f16 v15, v67, v15, -v17
	v_mul_f16_e32 v17, v35, v3
	v_mul_f16_e32 v20, v35, v5
	;; [unrolled: 1-line block ×4, first 2 shown]
	v_fmac_f16_e32 v18, v67, v21
	v_fma_f16 v5, v65, v5, -v17
	v_fmac_f16_e32 v20, v65, v3
	v_fma_f16 v3, v64, v19, -v24
	v_fmac_f16_e32 v26, v64, v4
	v_pack_b32_f16 v4, v14, v6
	v_pack_b32_f16 v6, v12, v13
	;; [unrolled: 1-line block ×5, first 2 shown]
	ds_store_2addr_b32 v2, v7, v4 offset0:8 offset1:74
	ds_store_2addr_b32 v1, v8, v6 offset0:78 offset1:144
	;; [unrolled: 1-line block ×5, first 2 shown]
	global_wb scope:SCOPE_SE
	s_wait_dscnt 0x0
	s_wait_kmcnt 0x0
	s_barrier_signal -1
	s_barrier_wait -1
	global_inv scope:SCOPE_SE
	ds_load_2addr_b32 v[3:4], v99 offset0:132 offset1:198
	ds_load_2addr_b32 v[5:6], v2 offset0:8 offset1:74
	;; [unrolled: 1-line block ×6, first 2 shown]
	ds_load_2addr_b32 v[17:18], v99 offset1:66
	ds_load_2addr_b32 v[19:20], v2 offset0:140 offset1:206
	v_and_b32_e32 v15, 0xffff, v22
	ds_load_2addr_b32 v[21:22], v31 offset0:24 offset1:90
	v_mul_u32_u24_e32 v23, 6, v46
	v_mul_u32_u24_e32 v24, 6, v45
	global_wb scope:SCOPE_SE
	s_wait_dscnt 0x0
	v_lshl_add_u32 v56, v15, 2, v102
	v_add_nc_u32_e32 v15, 0x200, v99
	v_lshl_add_u32 v55, v23, 2, v102
	v_lshl_add_u32 v52, v24, 2, v102
	s_barrier_signal -1
	s_barrier_wait -1
	global_inv scope:SCOPE_SE
	v_pk_add_f16 v23, v3, v7
	v_pk_add_f16 v24, v6, v10
	;; [unrolled: 1-line block ×3, first 2 shown]
	v_pk_add_f16 v7, v7, v11 neg_lo:[0,1] neg_hi:[0,1]
	v_pk_add_f16 v27, v10, v14
	v_pk_add_f16 v30, v17, v19
	;; [unrolled: 1-line block ×3, first 2 shown]
	v_pk_add_f16 v19, v19, v21 neg_lo:[0,1] neg_hi:[0,1]
	v_pk_add_f16 v34, v8, v12
	v_pk_add_f16 v28, v18, v20
	;; [unrolled: 1-line block ×4, first 2 shown]
	v_pk_add_f16 v20, v20, v22 neg_lo:[0,1] neg_hi:[0,1]
	v_pk_add_f16 v36, v9, v13
	v_pk_add_f16 v10, v10, v14 neg_lo:[0,1] neg_hi:[0,1]
	v_pk_add_f16 v29, v5, v9
	;; [unrolled: 2-line block ×3, first 2 shown]
	v_pk_add_f16 v14, v24, v14
	v_pk_fma_f16 v3, v26, 0.5, v3 op_sel_hi:[1,0,1] neg_lo:[1,0,0] neg_hi:[1,0,0]
	v_pk_mul_f16 v7, 0x3aee, v7 op_sel_hi:[0,1]
	v_pk_fma_f16 v6, v27, 0.5, v6 op_sel_hi:[1,0,1] neg_lo:[1,0,0] neg_hi:[1,0,0]
	v_pk_fma_f16 v17, v33, 0.5, v17 op_sel_hi:[1,0,1] neg_lo:[1,0,0] neg_hi:[1,0,0]
	v_pk_mul_f16 v19, 0x3aee, v19 op_sel_hi:[0,1]
	v_pk_fma_f16 v4, v34, 0.5, v4 op_sel_hi:[1,0,1] neg_lo:[1,0,0] neg_hi:[1,0,0]
	v_pk_add_f16 v9, v9, v13 neg_lo:[0,1] neg_hi:[0,1]
	v_pk_add_f16 v21, v30, v21
	v_pk_add_f16 v12, v32, v12
	v_pk_fma_f16 v18, v35, 0.5, v18 op_sel_hi:[1,0,1] neg_lo:[1,0,0] neg_hi:[1,0,0]
	v_pk_mul_f16 v20, 0x3aee, v20 op_sel_hi:[0,1]
	v_pk_fma_f16 v23, v36, 0.5, v5 op_sel_hi:[1,0,1] neg_lo:[1,0,0] neg_hi:[1,0,0]
	v_pk_add_f16 v22, v28, v22
	v_pk_add_f16 v13, v29, v13
	;; [unrolled: 1-line block ×3, first 2 shown]
	v_pk_add_f16 v29, v11, v14 neg_lo:[0,1] neg_hi:[0,1]
	v_pk_add_f16 v11, v3, v7 op_sel:[0,1] op_sel_hi:[1,0]
	v_pk_add_f16 v14, v3, v7 op_sel:[0,1] op_sel_hi:[1,0] neg_lo:[0,1] neg_hi:[0,1]
	v_pk_fma_f16 v7, 0x3aee, v10, v6 op_sel:[0,0,1] op_sel_hi:[0,1,0]
	v_pk_fma_f16 v6, 0x3aee, v10, v6 op_sel:[0,0,1] op_sel_hi:[0,1,0] neg_lo:[0,1,0] neg_hi:[0,1,0]
	v_pk_add_f16 v24, v17, v19 op_sel:[0,1] op_sel_hi:[1,0]
	v_pk_add_f16 v17, v17, v19 op_sel:[0,1] op_sel_hi:[1,0] neg_lo:[0,1] neg_hi:[0,1]
	v_pk_fma_f16 v19, 0x3aee, v8, v4 op_sel:[0,0,1] op_sel_hi:[0,1,0]
	v_pk_fma_f16 v4, 0x3aee, v8, v4 op_sel:[0,0,1] op_sel_hi:[0,1,0] neg_lo:[0,1,0] neg_hi:[0,1,0]
	v_pk_add_f16 v5, v21, v12
	v_pk_add_f16 v8, v21, v12 neg_lo:[0,1] neg_hi:[0,1]
	v_pk_add_f16 v12, v18, v20 op_sel:[0,1] op_sel_hi:[1,0]
	v_pk_add_f16 v18, v18, v20 op_sel:[0,1] op_sel_hi:[1,0] neg_lo:[0,1] neg_hi:[0,1]
	v_pk_fma_f16 v20, 0x3aee, v9, v23 op_sel:[0,0,1] op_sel_hi:[0,1,0]
	v_pk_fma_f16 v9, 0x3aee, v9, v23 op_sel:[0,0,1] op_sel_hi:[0,1,0] neg_lo:[0,1,0] neg_hi:[0,1,0]
	v_pk_add_f16 v3, v22, v13
	v_pk_add_f16 v10, v22, v13 neg_lo:[0,1] neg_hi:[0,1]
	v_lshrrev_b32_e32 v22, 16, v7
	v_bfi_b32 v7, 0xffff, v7, v6
	v_mul_f16_e32 v23, 0x3aee, v6
	v_lshrrev_b32_e32 v30, 16, v19
	v_bfi_b32 v19, 0xffff, v19, v4
	v_mul_f16_e32 v33, 0x3aee, v4
	v_lshrrev_b32_e32 v37, 16, v20
	v_bfi_b32 v20, 0xffff, v20, v9
	v_mul_f16_e32 v38, 0x3aee, v9
	v_pk_mul_f16 v40, v7, 0.5 op_sel_hi:[1,0]
	v_fmac_f16_e32 v23, 0.5, v22
	v_mul_f16_e32 v22, 0xbaee, v22
	v_fmac_f16_e32 v33, 0.5, v30
	v_mul_f16_e32 v41, 0xbaee, v30
	v_pk_mul_f16 v30, v19, 0.5 op_sel_hi:[1,0]
	v_fmac_f16_e32 v38, 0.5, v37
	v_mul_f16_e32 v42, 0xbaee, v37
	v_pk_mul_f16 v37, v20, 0.5 op_sel_hi:[1,0]
	v_lshrrev_b32_e32 v13, 16, v14
	v_bfi_b32 v32, 0xffff, v17, v24
	v_pk_fma_f16 v43, 0xbaee3aee, v7, v40 op_sel:[0,0,1] op_sel_hi:[1,1,0] neg_lo:[0,0,1] neg_hi:[0,0,1]
	v_fmac_f16_e32 v22, 0.5, v6
	v_fmac_f16_e32 v41, 0.5, v4
	v_pk_fma_f16 v4, 0xbaee3aee, v19, v30 op_sel:[0,0,1] op_sel_hi:[1,1,0] neg_lo:[0,0,1] neg_hi:[0,0,1]
	v_bfi_b32 v36, 0xffff, v18, v12
	v_fmac_f16_e32 v42, 0.5, v9
	v_pk_fma_f16 v20, 0xbaee3aee, v20, v37 op_sel:[0,0,1] op_sel_hi:[1,1,0] neg_lo:[0,0,1] neg_hi:[0,0,1]
	v_lshrrev_b32_e32 v28, 16, v17
	v_bfi_b32 v21, 0xffff, v14, v11
	v_lshrrev_b32_e32 v27, 16, v11
	v_lshrrev_b32_e32 v34, 16, v24
	v_add_f16_e32 v30, v11, v23
	v_sub_f16_e32 v37, v11, v23
	v_pk_add_f16 v7, v32, v4
	v_lshrrev_b32_e32 v11, 16, v43
	v_sub_f16_e32 v51, v13, v22
	v_pack_b32_f16 v13, v41, v4
	v_lshrrev_b32_e32 v4, 16, v4
	v_lshrrev_b32_e32 v35, 16, v18
	;; [unrolled: 1-line block ×3, first 2 shown]
	v_pk_add_f16 v9, v36, v20
	v_pack_b32_f16 v23, v42, v20
	v_lshrrev_b32_e32 v20, 16, v20
	v_pack_b32_f16 v22, v22, v43
	v_add_f16_e32 v6, v24, v33
	v_sub_f16_e32 v19, v24, v33
	v_add_f16_e32 v24, v12, v38
	v_sub_f16_e32 v33, v12, v38
	v_add_f16_e32 v12, v28, v41
	v_add_f16_e32 v53, v27, v11
	v_sub_f16_e32 v11, v34, v4
	v_pk_add_f16 v13, v17, v13 op_sel:[1,0] op_sel_hi:[0,1] neg_lo:[0,1] neg_hi:[0,1]
	v_pk_add_f16 v40, v21, v43 neg_lo:[0,1] neg_hi:[0,1]
	v_add_f16_e32 v21, v35, v42
	v_sub_f16_e32 v49, v39, v20
	v_pk_add_f16 v17, v18, v23 op_sel:[1,0] op_sel_hi:[0,1] neg_lo:[0,1] neg_hi:[0,1]
	v_pk_add_f16 v54, v14, v22 op_sel:[1,0] op_sel_hi:[0,1]
	v_pack_b32_f16 v6, v6, v12
	v_alignbit_b32 v12, v11, v13, 16
	v_pack_b32_f16 v11, v19, v13
	v_pack_b32_f16 v4, v24, v21
	v_alignbit_b32 v14, v49, v17, 16
	v_pack_b32_f16 v13, v33, v17
	;; [unrolled: 3-line block ×3, first 2 shown]
	ds_store_2addr_b64 v56, v[5:6], v[7:8] offset1:1
	ds_store_b64 v56, v[11:12] offset:16
	ds_store_2addr_b64 v55, v[3:4], v[9:10] offset1:1
	ds_store_b64 v55, v[13:14] offset:16
	;; [unrolled: 2-line block ×3, first 2 shown]
	global_wb scope:SCOPE_SE
	s_wait_dscnt 0x0
	s_barrier_signal -1
	s_barrier_wait -1
	global_inv scope:SCOPE_SE
	ds_load_2addr_b32 v[23:24], v99 offset1:108
	ds_load_2addr_b32 v[38:39], v15 offset0:88 offset1:196
	ds_load_2addr_b32 v[34:35], v1 offset0:48 offset1:156
	;; [unrolled: 1-line block ×4, first 2 shown]
	ds_load_b32 v50, v99 offset:4320
	v_add_co_u32 v21, s0, s8, v47
	s_wait_alu 0xf1ff
	v_add_co_ci_u32_e64 v22, null, s9, 0, s0
	v_lshrrev_b32_e32 v25, 16, v17
	v_lshrrev_b32_e32 v31, 16, v54
                                        ; implicit-def: $vgpr41
	s_and_saveexec_b32 s0, vcc_lo
	s_cbranch_execz .LBB0_3
; %bb.2:
	v_add_nc_u32_e32 v0, 0xa00, v99
	ds_load_2addr_b32 v[25:26], v99 offset0:66 offset1:174
	ds_load_2addr_b32 v[30:31], v2 offset0:26 offset1:134
	v_add_nc_u32_e32 v2, 0xe00, v99
	ds_load_2addr_b32 v[36:37], v1 offset0:114 offset1:222
	ds_load_b32 v57, v99 offset:4584
	ds_load_2addr_b32 v[43:44], v0 offset0:74 offset1:182
	ds_load_2addr_b32 v[41:42], v2 offset0:34 offset1:142
	s_wait_dscnt 0x5
	v_lshrrev_b32_e32 v49, 16, v25
	s_wait_dscnt 0x3
	v_mov_b32_e32 v29, v36
	v_lshrrev_b32_e32 v54, 16, v30
	v_lshrrev_b32_e32 v53, 16, v31
	;; [unrolled: 1-line block ×3, first 2 shown]
	s_wait_dscnt 0x2
	v_lshrrev_b32_e32 v58, 16, v57
	s_wait_dscnt 0x1
	v_lshrrev_b32_e32 v63, 16, v44
	;; [unrolled: 2-line block ×3, first 2 shown]
	v_lshrrev_b32_e32 v115, 16, v42
	v_mov_b32_e32 v40, v43
.LBB0_3:
	s_wait_alu 0xfffe
	s_or_b32 exec_lo, exec_lo, s0
	v_and_b32_e32 v0, 0xff, v46
	v_and_b32_e32 v1, 0xff, v91
	s_wait_dscnt 0x0
	v_lshrrev_b32_e32 v146, 16, v50
	v_lshrrev_b32_e32 v147, 16, v24
	;; [unrolled: 1-line block ×3, first 2 shown]
	v_mul_lo_u16 v0, 0xab, v0
	v_lshrrev_b32_e32 v135, 16, v29
	v_lshrrev_b32_e32 v137, 16, v38
	v_lshrrev_b32_e32 v139, 16, v39
	v_lshrrev_b32_e32 v145, 16, v28
	v_lshrrev_b16 v36, 10, v0
	v_mul_lo_u16 v0, 0xab, v1
	v_lshrrev_b32_e32 v136, 16, v40
	v_lshrrev_b32_e32 v140, 16, v34
	;; [unrolled: 1-line block ×3, first 2 shown]
	v_mul_lo_u16 v1, v36, 6
	v_lshrrev_b16 v59, 10, v0
	v_lshrrev_b32_e32 v142, 16, v32
	v_lshrrev_b32_e32 v144, 16, v27
	;; [unrolled: 1-line block ×3, first 2 shown]
	v_sub_nc_u16 v0, v46, v1
	v_mul_lo_u16 v1, v59, 6
	v_and_b32_e32 v59, 0xffff, v59
	v_lshrrev_b32_e32 v143, 16, v33
	s_delay_alu instid0(VALU_DEP_4) | instskip(NEXT) | instid1(VALU_DEP_4)
	v_and_b32_e32 v2, 0xff, v0
	v_sub_nc_u16 v0, v91, v1
	s_delay_alu instid0(VALU_DEP_4) | instskip(NEXT) | instid1(VALU_DEP_3)
	v_mul_u32_u24_e32 v59, 0x42, v59
	v_mul_u32_u24_e32 v1, 10, v2
	s_delay_alu instid0(VALU_DEP_3)
	v_and_b32_e32 v43, 0xff, v0
	scratch_store_b32 off, v2, off          ; 4-byte Folded Spill
	v_lshlrev_b32_e32 v8, 2, v1
	v_mul_u32_u24_e32 v9, 10, v43
	v_add_nc_u32_e32 v43, v59, v43
	s_clause 0x1
	global_load_b128 v[4:7], v8, s[10:11]
	global_load_b128 v[0:3], v8, s[10:11] offset:16
	v_lshlrev_b32_e32 v19, 2, v9
	v_lshl_add_u32 v114, v43, 2, v102
	s_clause 0x3
	global_load_b64 v[17:18], v8, s[10:11] offset:32
	global_load_b128 v[8:11], v19, s[10:11]
	global_load_b128 v[12:15], v19, s[10:11] offset:16
	global_load_b64 v[19:20], v19, s[10:11] offset:32
	global_wb scope:SCOPE_SE
	s_wait_loadcnt 0x0
	s_wait_storecnt 0x0
	s_barrier_signal -1
	s_barrier_wait -1
	global_inv scope:SCOPE_SE
	v_lshrrev_b32_e32 v111, 16, v4
	v_lshrrev_b32_e32 v110, 16, v5
	;; [unrolled: 1-line block ×16, first 2 shown]
	v_mul_f16_e32 v126, v26, v111
	v_mul_f16_e32 v43, v57, v113
	v_mul_f16_e64 v160, v39, v131
	v_mul_f16_e64 v173, v146, v119
	;; [unrolled: 1-line block ×5, first 2 shown]
	v_lshrrev_b32_e32 v105, 16, v1
	v_lshrrev_b32_e32 v109, 16, v3
	;; [unrolled: 1-line block ×4, first 2 shown]
	v_mul_f16_e64 v128, v127, v111
	v_mul_f16_e32 v123, v30, v110
	v_mul_f16_e32 v121, v31, v108
	v_mul_f16_e64 v150, v135, v106
	v_mul_f16_e64 v151, v51, v104
	;; [unrolled: 1-line block ×3, first 2 shown]
	v_mul_f16_e32 v59, v42, v112
	v_mul_f16_e64 v156, v58, v113
	v_mul_f16_e64 v157, v137, v132
	;; [unrolled: 1-line block ×9, first 2 shown]
	v_fmac_f16_e32 v126, v127, v4
	v_fmac_f16_e32 v43, v58, v18
	v_fmac_f16_e64 v160, v139, v10
	v_fma_f16 v139, v50, v20, -v173
	v_fmac_f16_e64 v174, v146, v20
	v_fmac_f16_e64 v175, v147, v8
	v_fma_f16 v24, v24, v8, -v176
	v_mul_f16_e64 v148, v54, v110
	v_mul_f16_e64 v149, v53, v108
	v_mul_f16_e32 v120, v29, v106
	v_mul_f16_e32 v117, v37, v104
	v_mul_f16_e64 v152, v136, v105
	v_mul_f16_e32 v116, v40, v105
	v_mul_f16_e32 v62, v44, v107
	v_mul_f16_e64 v154, v61, v109
	v_mul_f16_e32 v60, v41, v109
	v_mul_f16_e64 v155, v115, v112
	v_mul_f16_e64 v161, v140, v130
	;; [unrolled: 1-line block ×7, first 2 shown]
	v_fma_f16 v134, v26, v4, -v128
	v_fmac_f16_e32 v123, v54, v5
	v_fmac_f16_e32 v121, v53, v6
	v_fma_f16 v54, v29, v7, -v150
	v_fma_f16 v53, v37, v0, -v151
	;; [unrolled: 1-line block ×4, first 2 shown]
	v_fmac_f16_e32 v59, v115, v17
	v_fma_f16 v26, v38, v9, -v157
	v_fma_f16 v153, v28, v19, -v170
	v_fmac_f16_e64 v159, v137, v9
	v_fmac_f16_e64 v163, v140, v11
	;; [unrolled: 1-line block ×5, first 2 shown]
	v_sub_f16_e64 v137, v126, v43
	v_sub_f16_e64 v140, v175, v174
	v_add_f16_e64 v141, v24, v139
	v_add_f16_e64 v142, v23, v24
	v_sub_f16_e64 v24, v24, v139
	v_add_f16_e64 v145, v175, v174
	v_add_f16_e64 v175, v138, v175
	v_mul_f16_e64 v166, v143, v124
	v_fma_f16 v128, v30, v5, -v148
	v_fma_f16 v127, v31, v6, -v149
	;; [unrolled: 1-line block ×3, first 2 shown]
	v_fmac_f16_e64 v116, v136, v1
	v_fmac_f16_e32 v62, v63, v2
	v_fma_f16 v31, v41, v3, -v154
	v_fma_f16 v30, v42, v17, -v155
	v_fmac_f16_e32 v60, v61, v3
	v_fma_f16 v115, v39, v10, -v158
	v_fma_f16 v152, v27, v15, -v169
	v_fmac_f16_e64 v168, v143, v14
	v_fmac_f16_e64 v171, v144, v15
	v_add_f16_e64 v44, v134, v29
	v_sub_f16_e64 v136, v123, v59
	v_sub_f16_e64 v143, v159, v172
	v_add_f16_e64 v144, v26, v153
	v_sub_f16_e64 v146, v26, v153
	v_mul_f16_e64 v41, 0xbb47, v137
	v_mul_f16_e64 v63, 0xbbeb, v137
	;; [unrolled: 1-line block ×11, first 2 shown]
	v_add_f16_e64 v26, v142, v26
	v_add_f16_e64 v142, v175, v159
	v_fmac_f16_e64 v120, v135, v7
	v_fma_f16 v148, v34, v11, -v161
	v_fma_f16 v151, v33, v14, -v166
	v_add_f16_e64 v42, v128, v30
	v_sub_f16_e64 v135, v121, v60
	v_add_f16_e64 v147, v159, v172
	v_sub_f16_e64 v154, v160, v171
	;; [unrolled: 2-line block ×3, first 2 shown]
	v_mul_f16_e64 v39, 0xba0c, v136
	v_mul_f16_e64 v58, 0x3482, v136
	;; [unrolled: 1-line block ×11, first 2 shown]
	v_fmamk_f16 v24, v44, 0x36a6, v41
	v_fma_f16 v175, 0xb08e, v44, v63
	v_fma_f16 v224, v141, 0x3abb, -v176
	v_fmac_f16_e64 v176, 0x3abb, v141
	v_fma_f16 v225, v141, 0x36a6, -v177
	v_fmac_f16_e64 v177, 0x36a6, v141
	;; [unrolled: 2-line block ×5, first 2 shown]
	v_fma_f16 v229, 0x36a6, v145, v181
	v_fma_f16 v232, 0xb08e, v145, v184
	;; [unrolled: 1-line block ×4, first 2 shown]
	v_add_f16_e32 v26, v26, v115
	v_add_f16_e64 v115, v142, v160
	v_fmac_f16_e32 v117, v51, v0
	v_fma_f16 v149, v35, v12, -v162
	v_fma_f16 v150, v32, v13, -v165
	v_add_f16_e32 v38, v127, v31
	v_sub_f16_e32 v61, v120, v62
	v_add_f16_e64 v157, v160, v171
	v_sub_f16_e64 v158, v163, v168
	v_sub_f16_e64 v162, v148, v151
	v_mul_f16_e64 v57, 0x3b47, v135
	v_mul_f16_e64 v186, 0x3482, v154
	;; [unrolled: 1-line block ×11, first 2 shown]
	v_fma_f16 v216, 0xb93d, v42, v39
	v_fma_f16 v217, 0xbbad, v42, v58
	v_fma_f16 v141, v144, 0xb93d, -v180
	v_fma_f16 v230, 0xb93d, v147, v182
	v_fma_f16 v231, v144, 0xbbad, -v183
	v_fma_f16 v233, 0xbbad, v147, v185
	v_fma_f16 v246, v144, 0xb08e, -v198
	v_fma_f16 v248, 0xb08e, v147, v200
	v_fma_f16 v249, v144, 0x3abb, -v201
	v_fma_f16 v251, 0x3abb, v147, v203
	v_fma_f16 v160, 0x3abb, v145, v159
	v_fma_f16 v199, v145, 0xb93d, -v199
	v_fma_f16 v202, v145, 0xbbad, -v202
	v_add_f16_e32 v24, v25, v24
	v_add_f16_e64 v175, v25, v175
	v_add_f16_e64 v224, v23, v224
	;; [unrolled: 1-line block ×17, first 2 shown]
	v_add_f16_e32 v35, v54, v37
	v_sub_f16_e32 v51, v117, v116
	v_add_f16_e64 v161, v148, v151
	v_add_f16_e64 v165, v163, v168
	v_sub_f16_e64 v166, v164, v167
	v_sub_f16_e64 v170, v149, v150
	v_mul_f16_e32 v50, 0xb853, v61
	v_mul_f16_e64 v190, 0x3beb, v158
	v_mul_f16_e64 v191, 0x3beb, v162
	;; [unrolled: 1-line block ×10, first 2 shown]
	v_fma_f16 v219, 0x36a6, v38, v57
	v_fma_f16 v234, v155, 0xbbad, -v186
	v_fma_f16 v235, 0xbbad, v157, v187
	v_fma_f16 v236, v155, 0x36a6, -v188
	;; [unrolled: 2-line block ×5, first 2 shown]
	v_fma_f16 v80, 0x36a6, v147, v146
	v_fmac_f16_e64 v198, 0xb08e, v144
	v_fma_f16 v200, v147, 0xb08e, -v200
	v_fmac_f16_e64 v201, 0x3abb, v144
	v_fma_f16 v203, v147, 0x3abb, -v203
	v_add_f16_e64 v148, v138, v160
	v_add_f16_e64 v160, v138, v199
	;; [unrolled: 1-line block ×15, first 2 shown]
	v_add_f16_e32 v34, v53, v40
	v_add_f16_e64 v169, v149, v150
	v_add_f16_e64 v173, v164, v167
	v_mul_f16_e32 v32, 0xba0c, v51
	v_mul_f16_e64 v194, 0x3853, v166
	v_mul_f16_e64 v195, 0x3853, v170
	;; [unrolled: 1-line block ×10, first 2 shown]
	v_fma_f16 v221, 0x3abb, v35, v50
	v_fma_f16 v238, v161, 0xb08e, -v190
	v_fma_f16 v239, 0xb08e, v165, v191
	v_fma_f16 v240, v161, 0x3abb, -v192
	v_fma_f16 v241, 0x3abb, v165, v193
	v_fma_f16 v66, v161, 0xbbad, -v208
	v_fma_f16 v68, 0xbbad, v165, v209
	v_fma_f16 v70, v161, 0x36a6, -v210
	v_fma_f16 v72, 0x36a6, v165, v211
	v_fma_f16 v82, v155, 0xb08e, -v154
	v_fma_f16 v85, 0xb08e, v157, v156
	v_fmac_f16_e64 v204, 0x3abb, v155
	v_fma_f16 v205, v157, 0x3abb, -v205
	v_fmac_f16_e64 v206, 0xb93d, v155
	v_fma_f16 v207, v157, 0xb93d, -v207
	v_add_f16_e64 v142, v142, v224
	v_add_f16_e64 v80, v80, v148
	;; [unrolled: 1-line block ×17, first 2 shown]
	v_mul_f16_e64 v166, 0xb482, v166
	v_fma_f16 v223, 0xb93d, v34, v32
	v_fma_f16 v242, v169, 0x3abb, -v194
	v_fma_f16 v243, 0x3abb, v173, v195
	v_fma_f16 v244, v169, 0xb93d, -v196
	;; [unrolled: 2-line block ×6, first 2 shown]
	v_fmac_f16_e64 v210, 0x36a6, v161
	v_fma_f16 v211, v165, 0x36a6, -v211
	v_add_f16_e64 v82, v82, v142
	v_add_f16_e32 v80, v85, v80
	v_add_f16_e64 v85, v204, v148
	v_add_f16_e64 v142, v205, v149
	;; [unrolled: 1-line block ×15, first 2 shown]
	v_fma_f16 v90, v169, 0xbbad, -v166
	v_add_f16_e32 v82, v86, v82
	v_add_f16_e32 v80, v88, v80
	v_add_f16_e64 v86, v209, v142
	v_add_f16_e64 v88, v210, v23
	;; [unrolled: 1-line block ×8, first 2 shown]
	v_add_f16_e32 v66, v74, v66
	v_add_f16_e32 v68, v103, v68
	;; [unrolled: 1-line block ×4, first 2 shown]
	v_add_f16_e64 v26, v26, v152
	v_add_f16_e64 v74, v115, v171
	v_mul_f16_e64 v170, 0xb482, v170
	v_fmac_f16_e64 v208, 0xbbad, v161
	v_fmac_f16_e64 v214, 0xb08e, v169
	v_fma_f16 v215, v173, 0xb08e, -v215
	v_add_f16_e32 v76, v90, v82
	v_pack_b32_f16 v78, v141, v140
	v_pack_b32_f16 v82, v148, v149
	;; [unrolled: 1-line block ×4, first 2 shown]
	v_add_f16_e64 v26, v26, v153
	v_add_f16_e64 v70, v74, v172
	v_fma_f16 v93, 0xbbad, v173, v170
	v_fmac_f16_e64 v212, 0x36a6, v169
	v_fma_f16 v213, v173, 0x36a6, -v213
	v_add_f16_e64 v85, v208, v85
	ds_store_2addr_b32 v114, v78, v82 offset0:12 offset1:18
	ds_store_2addr_b32 v114, v66, v68 offset0:24 offset1:30
	v_add_f16_e64 v26, v26, v139
	v_add_f16_e64 v66, v70, v174
	;; [unrolled: 1-line block ×4, first 2 shown]
	v_add_f16_e32 v72, v93, v80
	v_add_f16_e64 v68, v212, v85
	v_add_f16_e64 v78, v213, v86
	v_pack_b32_f16 v66, v26, v66
	v_fma_f16 v26, v145, 0x36a6, -v181
	v_pack_b32_f16 v70, v70, v74
	v_fma_f16 v74, v145, 0xb08e, -v184
	v_fmac_f16_e64 v180, 0xb93d, v144
	v_pack_b32_f16 v72, v76, v72
	v_pack_b32_f16 v68, v68, v78
	v_add_f16_e64 v26, v138, v26
	v_fma_f16 v76, v147, 0xb93d, -v182
	v_add_f16_e64 v74, v138, v74
	v_fma_f16 v78, v147, 0xbbad, -v185
	v_add_f16_e64 v80, v180, v177
	v_fmac_f16_e64 v186, 0xbbad, v155
	v_fmac_f16_e64 v183, 0xbbad, v144
	v_add_f16_e32 v26, v76, v26
	v_add_f16_e32 v74, v78, v74
	v_fma_f16 v78, v157, 0xbbad, -v187
	v_add_f16_e64 v80, v186, v80
	v_fmac_f16_e64 v190, 0xb08e, v161
	v_add_f16_e64 v76, v183, v178
	v_fmac_f16_e64 v188, 0x36a6, v155
	v_fma_f16 v82, v157, 0x36a6, -v189
	v_add_f16_e32 v26, v78, v26
	v_add_f16_e64 v78, v190, v80
	v_fma_f16 v80, v165, 0xb08e, -v191
	v_add_f16_e64 v76, v188, v76
	v_fmac_f16_e64 v192, 0x3abb, v161
	v_add_f16_e32 v74, v82, v74
	v_fma_f16 v82, v165, 0x3abb, -v193
	v_add_f16_e32 v26, v80, v26
	v_fma_f16 v80, v145, 0x3abb, -v159
	v_add_f16_e64 v76, v192, v76
	v_fmac_f16_e64 v196, 0xb93d, v169
	v_add_f16_e32 v74, v82, v74
	v_fma_f16 v82, v173, 0xb93d, -v197
	v_add_f16_e64 v80, v138, v80
	v_fma_f16 v85, v147, 0x36a6, -v146
	v_add_f16_e64 v76, v196, v76
	v_fmac_f16_e64 v143, 0x36a6, v144
	v_add_f16_e32 v74, v82, v74
	v_fma_f16 v82, v157, 0xb08e, -v156
	v_add_f16_e32 v80, v85, v80
	v_fmac_f16_e64 v194, 0x3abb, v169
	v_fma_f16 v86, v173, 0x3abb, -v195
	v_add_f16_e64 v88, v143, v176
	v_fmac_f16_e64 v154, 0xb08e, v155
	v_pack_b32_f16 v74, v76, v74
	v_add_f16_e32 v76, v82, v80
	v_fma_f16 v80, v165, 0xb93d, -v162
	v_mul_f16_e64 v138, 0xb853, v137
	v_sub_f16_e64 v163, v134, v29
	v_add_f16_e64 v78, v194, v78
	v_add_f16_e32 v26, v86, v26
	v_add_f16_e64 v85, v154, v88
	v_fmac_f16_e64 v158, 0xb93d, v161
	v_add_f16_e32 v76, v80, v76
	v_fma_f16 v80, v173, 0xbbad, -v170
	v_fma_f16 v82, 0x3abb, v44, v138
	v_mul_f16_e64 v139, 0xbb47, v136
	v_add_f16_e64 v175, v126, v43
	v_mul_f16_e64 v140, 0xb853, v163
	v_sub_f16_e64 v164, v128, v30
	v_pack_b32_f16 v78, v78, v26
	v_add_f16_e64 v26, v158, v85
	v_fmac_f16_e64 v166, 0xbbad, v169
	v_add_f16_e32 v76, v80, v76
	v_add_f16_e32 v80, v25, v82
	v_fma_f16 v82, 0x36a6, v42, v139
	v_fma_f16 v85, v175, 0x3abb, -v140
	v_mul_f16_e64 v151, 0xbb47, v163
	v_add_f16_e64 v176, v123, v59
	v_mul_f16_e64 v144, 0xbb47, v164
	v_mul_f16_e64 v161, 0xba0c, v137
	v_add_f16_e64 v26, v166, v26
	v_add_f16_e32 v80, v82, v80
	v_add_f16_e32 v82, v49, v85
	v_fma_f16 v85, v175, 0x36a6, -v151
	v_fma_f16 v86, v176, 0x36a6, -v144
	v_mul_f16_e64 v153, 0xba0c, v164
	v_fma_f16 v93, 0xb93d, v44, v161
	v_mul_f16_e64 v159, 0x3beb, v136
	v_mul_f16_e64 v166, 0xba0c, v163
	;; [unrolled: 1-line block ×3, first 2 shown]
	v_add_f16_e32 v85, v49, v85
	v_fma_f16 v90, v176, 0xb93d, -v153
	v_add_f16_e32 v93, v25, v93
	v_fma_f16 v115, 0xb08e, v42, v159
	v_add_f16_e32 v82, v86, v82
	v_fma_f16 v86, v175, 0xb93d, -v166
	v_sub_f16_e64 v171, v127, v31
	v_mul_f16_e64 v167, 0x3beb, v164
	v_fma_f16 v88, v175, 0xb08e, -v156
	v_mul_f16_e64 v157, 0x3482, v164
	v_add_f16_e32 v85, v90, v85
	v_add_f16_e32 v90, v115, v93
	v_add_f16_e32 v86, v49, v86
	v_add_f16_e64 v180, v121, v60
	v_fma_f16 v93, v176, 0xb08e, -v167
	v_mul_f16_e64 v155, 0x3482, v171
	v_add_f16_e32 v88, v49, v88
	v_fma_f16 v103, v176, 0xbbad, -v157
	v_mul_f16_e64 v147, 0xbbeb, v135
	v_mul_f16_e64 v148, 0xbbeb, v171
	v_add_f16_e32 v86, v93, v86
	v_fma_f16 v93, v180, 0xbbad, -v155
	v_mul_f16_e64 v165, 0xb853, v135
	v_sub_f16_e64 v177, v54, v37
	v_add_f16_e32 v88, v103, v88
	v_mul_f16_e64 v162, 0x3b47, v171
	v_fma_f16 v103, 0xb08e, v38, v147
	v_fma_f16 v115, v180, 0xb08e, -v148
	v_add_f16_e32 v85, v93, v85
	v_mul_f16_e64 v172, 0xb853, v171
	v_fma_f16 v93, 0x3abb, v38, v165
	v_mul_f16_e64 v149, 0xba0c, v61
	v_add_f16_e64 v181, v120, v62
	v_mul_f16_e64 v150, 0xba0c, v177
	v_mul_f16_e64 v33, 0x3482, v135
	v_fma_f16 v141, v180, 0x36a6, -v162
	v_add_f16_e32 v80, v103, v80
	v_add_f16_e32 v82, v115, v82
	v_fma_f16 v103, v180, 0x3abb, -v172
	v_add_f16_e32 v90, v93, v90
	v_mul_f16_e64 v160, 0x3beb, v177
	v_fma_f16 v93, 0xb93d, v35, v149
	v_fma_f16 v115, v181, 0xb93d, -v150
	v_mul_f16_e64 v168, 0xb853, v177
	v_mul_f16_e64 v152, 0xb482, v51
	v_sub_f16_e64 v179, v53, v40
	v_mul_f16_e32 v28, 0x3beb, v61
	v_fma_f16 v218, 0xbbad, v38, v33
	v_add_f16_e64 v88, v141, v88
	v_add_f16_e32 v86, v103, v86
	v_fma_f16 v103, v181, 0xb08e, -v160
	v_add_f16_e32 v80, v93, v80
	v_add_f16_e32 v82, v115, v82
	v_mul_f16_e64 v169, 0xb482, v61
	v_fma_f16 v93, v181, 0x3abb, -v168
	v_mul_f16_e64 v174, 0xb482, v177
	v_fma_f16 v115, 0xbbad, v34, v152
	v_add_f16_e64 v182, v117, v116
	v_mul_f16_e64 v154, 0xb482, v179
	v_mul_f16_e32 v27, 0x3853, v51
	v_fma_f16 v220, 0xb08e, v35, v28
	v_add_f16_e64 v24, v218, v24
	v_add_f16_e32 v85, v103, v85
	v_fma_f16 v103, 0xbbad, v35, v169
	v_add_f16_e32 v88, v93, v88
	v_fma_f16 v93, v181, 0xbbad, -v174
	v_add_f16_e64 v142, v115, v80
	v_mul_f16_e64 v158, 0x3853, v179
	v_mul_f16_e64 v170, 0xba0c, v179
	v_fma_f16 v80, v182, 0xbbad, -v154
	v_mul_f16_e64 v178, 0x3b47, v179
	v_mul_f16_e64 v173, 0x3b47, v51
	v_fma_f16 v222, 0x3abb, v34, v27
	v_add_f16_e64 v24, v220, v24
	v_add_f16_e32 v90, v103, v90
	v_add_f16_e32 v86, v93, v86
	v_fma_f16 v93, v182, 0x3abb, -v158
	v_fma_f16 v103, v182, 0xb93d, -v170
	v_add_f16_e64 v145, v80, v82
	v_fma_f16 v80, v182, 0x36a6, -v178
	v_fma_f16 v82, 0x36a6, v34, v173
	v_add_f16_e64 v24, v222, v24
	v_add_f16_e64 v146, v93, v85
	;; [unrolled: 1-line block ×3, first 2 shown]
	v_pack_b32_f16 v76, v26, v76
	v_add_f16_e64 v141, v80, v86
	v_add_f16_e32 v26, v82, v90
	v_and_b32_e32 v115, 0xffff, v36
	ds_store_2addr_b32 v114, v66, v72 offset1:6
	ds_store_2addr_b32 v114, v70, v68 offset0:36 offset1:42
	ds_store_2addr_b32 v114, v74, v78 offset0:48 offset1:54
	ds_store_b32 v114, v76 offset:240
	s_and_saveexec_b32 s0, vcc_lo
	s_cbranch_execz .LBB0_5
; %bb.4:
	v_mul_f16_e64 v66, 0x3abb, v175
	v_mul_f16_e64 v70, 0x36a6, v175
	;; [unrolled: 1-line block ×5, first 2 shown]
	v_mul_f16_e32 v68, 0x36a6, v44
	v_mul_f16_e64 v82, 0x36a6, v176
	v_mul_f16_e64 v86, 0xb93d, v176
	;; [unrolled: 1-line block ×4, first 2 shown]
	v_fma_f16 v200, 0x3482, v163, v175
	v_mul_f16_e64 v176, 0x3abb, v176
	v_mul_f16_e32 v85, 0xb93d, v42
	v_mul_f16_e64 v184, 0xb08e, v180
	v_mul_f16_e64 v186, 0xbbad, v180
	;; [unrolled: 1-line block ×4, first 2 shown]
	v_add_f16_e64 v200, v49, v200
	v_fma_f16 v204, 0xb853, v164, v176
	v_mul_f16_e64 v180, 0xb93d, v180
	v_mul_f16_e64 v137, 0xb482, v137
	v_sub_f16_e32 v41, v68, v41
	v_mul_f16_e32 v36, 0x3abb, v44
	v_mul_f16_e32 v72, 0xb08e, v44
	;; [unrolled: 1-line block ×3, first 2 shown]
	v_mul_f16_e64 v192, 0xb93d, v181
	v_mul_f16_e64 v194, 0xb08e, v181
	;; [unrolled: 1-line block ×4, first 2 shown]
	v_add_f16_e64 v200, v204, v200
	v_fma_f16 v204, 0x3a0c, v171, v180
	v_mul_f16_e64 v181, 0x36a6, v181
	v_fma_f16 v208, 0xbbad, v44, v137
	v_mul_f16_e64 v136, 0x3853, v136
	v_fma_f16 v44, v44, 0xbbad, -v137
	v_add_f16_e32 v41, v25, v41
	v_sub_f16_e32 v39, v85, v39
	v_mul_f16_e32 v80, 0x36a6, v42
	v_mul_f16_e32 v88, 0xbbad, v42
	;; [unrolled: 1-line block ×3, first 2 shown]
	v_mul_f16_e64 v185, 0xbbad, v38
	v_add_f16_e64 v200, v204, v200
	v_fma_f16 v204, 0xbb47, v177, v181
	v_fma_f16 v210, 0x3abb, v42, v136
	v_mul_f16_e64 v135, 0xba0c, v135
	v_add_f16_e32 v44, v25, v44
	v_fma_f16 v42, v42, 0x3abb, -v136
	v_add_f16_e32 v39, v39, v41
	v_add_f16_e64 v41, v25, v134
	v_mul_f16_e64 v183, 0xb08e, v38
	v_mul_f16_e64 v187, 0x36a6, v38
	;; [unrolled: 1-line block ×4, first 2 shown]
	v_add_f16_e64 v200, v204, v200
	v_fma_f16 v204, 0xb93d, v38, v135
	v_mul_f16_e32 v61, 0x3b47, v61
	v_add_f16_e32 v42, v42, v44
	v_fma_f16 v38, v38, 0xb93d, -v135
	v_sub_f16_e64 v33, v185, v33
	v_add_f16_e64 v41, v41, v128
	v_mul_f16_e64 v191, 0xb93d, v35
	v_mul_f16_e64 v195, 0x3abb, v35
	;; [unrolled: 1-line block ×3, first 2 shown]
	v_fmac_f16_e64 v176, 0x3853, v164
	v_fma_f16 v164, 0x36a6, v35, v61
	v_add_f16_e32 v38, v38, v42
	v_fma_f16 v35, v35, 0x36a6, -v61
	v_add_f16_e32 v33, v33, v39
	v_sub_f16_e64 v28, v193, v28
	v_add_f16_e32 v41, v41, v127
	v_sub_f16_e32 v63, v72, v63
	v_add_f16_e32 v35, v35, v38
	v_sub_f16_e64 v38, v76, v161
	v_add_f16_e32 v28, v28, v33
	v_sub_f16_e64 v33, v36, v138
	v_add_f16_e32 v36, v41, v54
	v_add_f16_e64 v208, v25, v208
	v_add_f16_e32 v38, v25, v38
	v_add_f16_e32 v63, v25, v63
	;; [unrolled: 1-line block ×4, first 2 shown]
	v_sub_f16_e32 v58, v88, v58
	v_add_f16_e64 v70, v151, v70
	v_sub_f16_e64 v57, v187, v57
	v_sub_f16_e64 v50, v195, v50
	v_add_f16_e32 v33, v33, v40
	v_add_f16_e32 v58, v58, v63
	;; [unrolled: 1-line block ×3, first 2 shown]
	v_add_f16_e64 v70, v153, v86
	v_fmac_f16_e64 v175, 0xb482, v163
	v_add_f16_e32 v33, v33, v37
	v_add_f16_e32 v57, v57, v58
	v_fmac_f16_e64 v180, 0xba0c, v171
	v_add_f16_e32 v58, v70, v63
	v_add_f16_e64 v63, v155, v186
	v_add_f16_e32 v31, v33, v31
	v_add_f16_e32 v50, v50, v57
	v_add_f16_e64 v175, v49, v175
	v_mul_f16_e32 v51, 0xbbeb, v51
	v_add_f16_e32 v57, v63, v58
	v_add_f16_e32 v30, v31, v30
	;; [unrolled: 1-line block ×3, first 2 shown]
	v_add_f16_e64 v137, v176, v175
	v_add_f16_e64 v78, v166, v78
	v_mul_f16_e64 v199, 0xbbad, v34
	v_add_f16_e32 v29, v30, v29
	scratch_load_b32 v30, off, off          ; 4-byte Folded Reload
	v_add_f16_e32 v39, v63, v123
	v_mul_f16_e64 v202, 0x3abb, v34
	v_mul_f16_e64 v205, 0xb93d, v34
	;; [unrolled: 1-line block ×3, first 2 shown]
	v_add_f16_e64 v136, v180, v137
	v_add_f16_e32 v39, v39, v121
	v_fma_f16 v137, 0xb08e, v34, v51
	v_add_f16_e32 v78, v49, v78
	v_add_f16_e64 v103, v167, v103
	v_fma_f16 v34, v34, 0xb08e, -v51
	v_add_f16_e32 v39, v39, v120
	v_add_f16_e64 v51, v156, v74
	v_add_f16_e64 v63, v140, v66
	v_sub_f16_e64 v36, v80, v139
	v_add_f16_e32 v61, v103, v78
	v_add_f16_e32 v39, v39, v117
	v_add_f16_e64 v78, v172, v190
	v_add_f16_e32 v51, v49, v51
	v_add_f16_e32 v41, v49, v63
	v_add_f16_e64 v49, v144, v82
	v_add_f16_e32 v25, v36, v25
	v_add_f16_e32 v36, v39, v116
	v_mul_f16_e64 v209, 0x36a6, v182
	v_add_f16_e32 v61, v78, v61
	v_add_f16_e64 v74, v174, v198
	v_add_f16_e64 v78, v157, v90
	v_add_f16_e32 v41, v49, v41
	v_add_f16_e64 v49, v148, v184
	v_sub_f16_e64 v39, v183, v147
	v_add_f16_e32 v36, v36, v62
	v_sub_f16_e64 v76, v93, v159
	v_mul_f16_e64 v201, 0xbbad, v182
	v_add_f16_e32 v61, v74, v61
	v_add_f16_e64 v74, v178, v209
	v_add_f16_e32 v51, v78, v51
	v_add_f16_e64 v78, v162, v188
	;; [unrolled: 2-line block ×3, first 2 shown]
	v_add_f16_e32 v25, v39, v25
	v_sub_f16_e64 v39, v191, v149
	v_add_f16_e32 v36, v36, v60
	v_add_f16_e32 v38, v76, v38
	v_sub_f16_e64 v76, v189, v165
	v_add_f16_e64 v163, v210, v208
	v_mul_f16_e64 v203, 0x3abb, v182
	v_mul_f16_e64 v206, 0xb93d, v182
	v_add_f16_e32 v61, v74, v61
	v_add_f16_e32 v51, v78, v51
	v_add_f16_e64 v74, v168, v196
	v_add_f16_e64 v58, v160, v194
	v_add_f16_e32 v33, v37, v40
	v_add_f16_e64 v37, v154, v201
	v_add_f16_e32 v25, v39, v25
	v_mul_u32_u24_e32 v31, 0x42, v115
	v_add_f16_e32 v36, v36, v59
	v_sub_f16_e64 v39, v199, v152
	v_mul_f16_e64 v182, 0xb08e, v182
	v_fmac_f16_e64 v181, 0x3b47, v177
	v_add_f16_e32 v38, v76, v38
	v_sub_f16_e64 v72, v197, v169
	v_add_f16_e64 v163, v204, v163
	v_add_f16_e32 v51, v74, v51
	v_add_f16_e64 v74, v170, v206
	v_sub_f16_e64 v32, v205, v32
	v_add_f16_e32 v57, v58, v57
	v_add_f16_e64 v58, v158, v203
	v_add_f16_e32 v33, v37, v33
	v_add_f16_e32 v25, v39, v25
	v_sub_f16_e64 v27, v202, v27
	v_fma_f16 v208, 0x3beb, v179, v182
	v_add_f16_e64 v44, v181, v136
	v_fmac_f16_e64 v182, 0xbbeb, v179
	v_add_f16_e32 v38, v72, v38
	v_sub_f16_e64 v72, v207, v173
	v_add_f16_e64 v163, v164, v163
	v_add_f16_e32 v51, v74, v51
	v_pack_b32_f16 v25, v25, v33
	v_add_f16_e32 v27, v27, v28
	v_add_f16_e32 v28, v32, v50
	v_add_f16_e64 v44, v182, v44
	v_add_f16_e32 v32, v34, v35
	v_add_f16_e64 v200, v208, v200
	v_add_f16_e64 v42, v137, v163
	v_perm_b32 v33, v143, v23, 0x5040100
	v_perm_b32 v34, v146, v24, 0x5040100
	v_perm_b32 v35, v145, v142, 0x5040100
	s_wait_loadcnt 0x0
	v_add_nc_u32_e32 v30, v31, v30
	v_add_f16_e32 v31, v36, v43
	v_add_f16_e32 v36, v58, v57
	s_delay_alu instid0(VALU_DEP_3) | instskip(NEXT) | instid1(VALU_DEP_3)
	v_lshl_add_u32 v30, v30, 2, v102
	v_pack_b32_f16 v29, v29, v31
	v_add_f16_e32 v31, v72, v38
	ds_store_2addr_b32 v30, v29, v25 offset1:6
	v_pack_b32_f16 v25, v27, v36
	v_pack_b32_f16 v27, v28, v51
	;; [unrolled: 1-line block ×5, first 2 shown]
	v_perm_b32 v32, v141, v26, 0x5040100
	ds_store_2addr_b32 v30, v25, v27 offset0:12 offset1:18
	ds_store_2addr_b32 v30, v28, v29 offset0:24 offset1:30
	ds_store_2addr_b32 v30, v31, v32 offset0:36 offset1:42
	ds_store_2addr_b32 v30, v33, v34 offset0:48 offset1:54
	ds_store_b32 v30, v35 offset:240
.LBB0_5:
	s_wait_alu 0xfffe
	s_or_b32 exec_lo, exec_lo, s0
	v_add_co_u32 v35, null, 0xc6, v91
	v_and_b32_e32 v27, 0xff, v45
	v_lshlrev_b32_e32 v50, 2, v91
	v_add_co_u32 v37, null, 0x108, v91
	s_delay_alu instid0(VALU_DEP_4) | instskip(NEXT) | instid1(VALU_DEP_4)
	v_and_b32_e32 v28, 0xffff, v35
	v_mul_lo_u16 v27, 0xf9, v27
	v_add_co_u32 v36, null, 0x14a, v91
	v_add_nc_u32_e32 v25, 0x18c, v91
	s_delay_alu instid0(VALU_DEP_4) | instskip(NEXT) | instid1(VALU_DEP_4)
	v_mul_u32_u24_e32 v28, 0xf83f, v28
	v_lshrrev_b16 v27, 14, v27
	v_add_nc_u32_e32 v29, 0x1ce, v91
	v_add_nc_u32_e32 v30, 0x210, v91
	global_wb scope:SCOPE_SE
	s_wait_dscnt 0x0
	v_lshrrev_b32_e32 v28, 22, v28
	v_mul_lo_u16 v27, 0x42, v27
	s_barrier_signal -1
	s_barrier_wait -1
	global_inv scope:SCOPE_SE
	v_mul_lo_u16 v28, 0x42, v28
	v_sub_nc_u16 v27, v45, v27
	global_load_b32 v116, v50, s[10:11] offset:240
	v_and_b32_e32 v31, 0xffff, v37
	v_and_b32_e32 v32, 0xffff, v36
	v_sub_nc_u16 v28, v35, v28
	v_and_b32_e32 v33, 0xffff, v25
	v_and_b32_e32 v27, 0xff, v27
	;; [unrolled: 1-line block ×5, first 2 shown]
	v_mul_u32_u24_e32 v44, 0xf83f, v31
	v_mul_u32_u24_e32 v51, 0xf83f, v32
	v_lshlrev_b32_e32 v62, 2, v27
	v_mul_u32_u24_e32 v27, 0xf83f, v33
	v_lshlrev_b32_e32 v63, 2, v28
	v_mul_u32_u24_e32 v28, 0xf83f, v34
	v_mul_u32_u24_e32 v32, 0xf83f, v38
	global_load_b32 v128, v62, s[10:11] offset:240
	v_lshrrev_b32_e32 v31, 22, v44
	v_lshrrev_b32_e32 v33, 22, v51
	v_lshrrev_b32_e32 v27, 22, v27
	v_lshrrev_b32_e32 v28, 22, v28
	v_lshrrev_b32_e32 v32, 22, v32
	v_mul_lo_u16 v31, 0x42, v31
	v_mul_lo_u16 v33, 0x42, v33
	;; [unrolled: 1-line block ×5, first 2 shown]
	v_sub_nc_u16 v31, v37, v31
	v_sub_nc_u16 v33, v36, v33
	;; [unrolled: 1-line block ×5, first 2 shown]
	v_and_b32_e32 v28, 0xffff, v31
	v_and_b32_e32 v30, 0xffff, v33
	;; [unrolled: 1-line block ×5, first 2 shown]
	v_lshlrev_b32_e32 v66, 2, v28
	v_lshlrev_b32_e32 v68, 2, v30
	;; [unrolled: 1-line block ×5, first 2 shown]
	s_clause 0x5
	global_load_b32 v127, v63, s[10:11] offset:240
	global_load_b32 v126, v66, s[10:11] offset:240
	;; [unrolled: 1-line block ×6, first 2 shown]
	v_add_nc_u32_e32 v57, 0x800, v99
	v_add_nc_u32_e32 v176, 0xc00, v99
	;; [unrolled: 1-line block ×3, first 2 shown]
	ds_load_2addr_b32 v[27:28], v99 offset1:66
	ds_load_2addr_b32 v[29:30], v99 offset0:132 offset1:198
	ds_load_2addr_b32 v[31:32], v57 offset0:16 offset1:82
	;; [unrolled: 1-line block ×5, first 2 shown]
	v_lshlrev_b32_e32 v38, 3, v46
	v_lshrrev_b32_e32 v46, 23, v51
	v_add_nc_u32_e32 v138, v102, v66
	v_add_nc_u32_e32 v137, v102, v68
	;; [unrolled: 1-line block ×4, first 2 shown]
	v_mul_lo_u16 v46, 0x84, v46
	ds_load_2addr_b32 v[53:54], v176 offset0:156 offset1:222
	ds_load_2addr_b32 v[58:59], v25 offset0:140 offset1:206
	v_lshrrev_b32_e32 v44, 23, v44
	v_add_nc_u32_e32 v139, v102, v62
	ds_load_2addr_b32 v[60:61], v49 offset0:32 offset1:98
	v_sub_nc_u16 v46, v36, v46
	global_wb scope:SCOPE_SE
	s_wait_loadcnt_dscnt 0x0
	s_barrier_signal -1
	s_barrier_wait -1
	global_inv scope:SCOPE_SE
	v_lshrrev_b32_e32 v82, 16, v32
	v_lshrrev_b32_e32 v85, 16, v33
	v_lshlrev_b16 v135, 3, v46
	v_lshrrev_b32_e32 v51, 16, v27
	v_lshrrev_b32_e32 v76, 16, v28
	;; [unrolled: 1-line block ×4, first 2 shown]
	v_and_b32_e32 v149, 0xffff, v135
	v_add_nc_u32_e32 v135, v102, v72
	v_lshrrev_b32_e32 v93, 16, v41
	v_lshrrev_b32_e32 v144, 16, v53
	;; [unrolled: 1-line block ×4, first 2 shown]
	v_add_co_u32 v156, s1, s10, v149
	v_lshrrev_b32_e32 v159, 16, v60
	v_lshrrev_b32_e32 v161, 16, v61
	v_mul_lo_u16 v44, 0x84, v44
	v_lshrrev_b32_e32 v80, 16, v30
	v_lshrrev_b32_e32 v90, 16, v42
	;; [unrolled: 1-line block ×4, first 2 shown]
	v_sub_nc_u16 v44, v37, v44
	v_lshrrev_b32_e32 v158, 16, v59
	v_lshrrev_b32_e32 v160, 16, v31
	v_add_nc_u32_e32 v162, 0x400, v139
	v_add_nc_u32_e32 v140, v102, v63
	v_lshlrev_b16 v134, 3, v44
	v_lshlrev_b32_e32 v39, 3, v91
	v_and_b32_e32 v44, 0xffff, v44
	v_and_b32_e32 v46, 0xffff, v46
	v_lshlrev_b32_e32 v35, 3, v35
	v_and_b32_e32 v62, 0xffff, v134
	v_add_nc_u32_e32 v134, v102, v74
	v_add_nc_u32_e32 v74, 0x400, v140
	v_lshlrev_b32_e32 v37, 3, v37
	v_lshlrev_b32_e32 v36, 3, v36
	v_add_co_u32 v62, s0, s10, v62
	s_wait_alu 0xf1ff
	v_add_co_ci_u32_e64 v63, null, s11, 0, s0
	v_lshrrev_b32_e32 v148, 16, v116
	s_delay_alu instid0(VALU_DEP_1) | instskip(SKIP_3) | instid1(VALU_DEP_4)
	v_mul_f16_e64 v66, v82, v148
	v_mul_f16_e64 v68, v32, v148
	;; [unrolled: 1-line block ×4, first 2 shown]
	v_fma_f16 v32, v32, v116, -v66
	s_delay_alu instid0(VALU_DEP_4) | instskip(NEXT) | instid1(VALU_DEP_4)
	v_fmac_f16_e32 v68, v82, v116
	v_fma_f16 v33, v33, v116, -v70
	s_delay_alu instid0(VALU_DEP_4)
	v_fmac_f16_e32 v72, v85, v116
	v_add_nc_u32_e32 v66, 0x800, v138
	v_sub_f16_e32 v32, v27, v32
	v_sub_f16_e32 v68, v51, v68
	;; [unrolled: 1-line block ×4, first 2 shown]
	v_lshrrev_b32_e32 v155, 16, v128
	v_fma_f16 v27, v27, 2.0, -v32
	v_fma_f16 v51, v51, 2.0, -v68
	;; [unrolled: 1-line block ×4, first 2 shown]
	v_pack_b32_f16 v32, v32, v68
	v_pack_b32_f16 v33, v33, v70
	v_pack_b32_f16 v27, v27, v51
	v_add_nc_u32_e32 v72, 0x800, v137
	v_pack_b32_f16 v28, v28, v76
	ds_store_2addr_b32 v99, v27, v32 offset1:66
	ds_store_2addr_b32 v99, v28, v33 offset0:132 offset1:198
	v_mul_f16_e64 v27, v86, v155
	v_mul_f16_e64 v28, v34, v155
	v_add_nc_u32_e32 v82, 0xc00, v136
	v_add_nc_u32_e32 v51, 0xc00, v135
	v_lshrrev_b32_e32 v154, 16, v127
	v_lshrrev_b32_e32 v153, 16, v126
	;; [unrolled: 1-line block ×6, first 2 shown]
	v_fma_f16 v27, v34, v128, -v27
	v_fmac_f16_e64 v28, v86, v128
	v_mul_f16_e64 v32, v88, v154
	v_mul_f16_e64 v33, v40, v154
	;; [unrolled: 1-line block ×12, first 2 shown]
	v_fma_f16 v32, v40, v127, -v32
	v_fmac_f16_e32 v33, v88, v127
	v_sub_f16_e32 v27, v29, v27
	v_sub_f16_e32 v28, v78, v28
	v_fma_f16 v34, v41, v126, -v34
	v_fmac_f16_e32 v70, v93, v126
	v_fma_f16 v40, v53, v123, -v76
	v_fmac_f16_e64 v85, v144, v123
	v_fma_f16 v41, v54, v121, -v86
	v_fmac_f16_e64 v163, v157, v121
	;; [unrolled: 2-line block ×4, first 2 shown]
	v_fma_f16 v29, v29, 2.0, -v27
	v_fma_f16 v60, v78, 2.0, -v28
	v_sub_f16_e32 v32, v30, v32
	v_sub_f16_e32 v33, v80, v33
	;; [unrolled: 1-line block ×7, first 2 shown]
	v_sub_f16_e64 v76, v147, v163
	v_sub_f16_e32 v53, v59, v53
	v_sub_f16_e64 v78, v158, v165
	v_sub_f16_e32 v54, v31, v54
	v_sub_f16_e64 v85, v160, v167
	v_pack_b32_f16 v27, v27, v28
	v_fma_f16 v28, v30, 2.0, -v32
	v_fma_f16 v30, v80, 2.0, -v33
	v_pack_b32_f16 v29, v29, v60
	v_fma_f16 v42, v42, 2.0, -v34
	v_fma_f16 v80, v90, 2.0, -v61
	;; [unrolled: 1-line block ×10, first 2 shown]
	v_pack_b32_f16 v32, v32, v33
	ds_store_2addr_b32 v162, v29, v27 offset0:8 offset1:74
	v_pack_b32_f16 v27, v28, v30
	v_pack_b32_f16 v33, v34, v61
	;; [unrolled: 1-line block ×9, first 2 shown]
	v_add_co_ci_u32_e64 v157, null, s11, 0, s1
	v_add_nc_u32_e32 v68, 0x1000, v134
	v_pack_b32_f16 v53, v54, v85
	v_pack_b32_f16 v31, v31, v93
	ds_store_2addr_b32 v74, v27, v32 offset0:140 offset1:206
	ds_store_2addr_b32 v66, v28, v33 offset0:16 offset1:82
	;; [unrolled: 1-line block ×6, first 2 shown]
	global_wb scope:SCOPE_SE
	s_wait_dscnt 0x0
	s_barrier_signal -1
	s_barrier_wait -1
	global_inv scope:SCOPE_SE
	s_clause 0x3
	global_load_b64 v[33:34], v39, s[10:11] offset:504
	global_load_b64 v[31:32], v38, s[10:11] offset:504
	global_load_b64 v[29:30], v[62:63], off offset:504
	global_load_b64 v[27:28], v[156:157], off offset:504
	ds_load_2addr_b32 v[40:41], v99 offset1:66
	ds_load_2addr_b32 v[42:43], v25 offset0:140 offset1:206
	ds_load_2addr_b32 v[53:54], v176 offset0:24 offset1:90
	ds_load_2addr_b32 v[58:59], v99 offset0:132 offset1:198
	ds_load_2addr_b32 v[60:61], v57 offset0:16 offset1:82
	ds_load_2addr_b32 v[62:63], v176 offset0:156 offset1:222
	v_lshl_add_u32 v144, v44, 2, v102
	v_lshlrev_b32_e32 v51, 3, v45
	ds_load_2addr_b32 v[44:45], v25 offset0:8 offset1:74
	ds_load_2addr_b32 v[164:165], v57 offset0:148 offset1:214
	;; [unrolled: 1-line block ×3, first 2 shown]
	v_lshl_add_u32 v147, v46, 2, v102
	global_wb scope:SCOPE_SE
	s_wait_loadcnt_dscnt 0x0
	s_barrier_signal -1
	s_barrier_wait -1
	global_inv scope:SCOPE_SE
	v_add_nc_u32_e32 v46, 0xc00, v144
	v_add_nc_u32_e32 v66, 0xc00, v147
	s_add_nc_u64 s[0:1], s[8:9], 0x1290
	v_lshrrev_b32_e32 v68, 16, v40
	v_lshrrev_b32_e32 v70, 16, v42
	;; [unrolled: 1-line block ×26, first 2 shown]
	v_mul_f16_e64 v172, v70, v163
	v_mul_f16_e64 v173, v42, v163
	;; [unrolled: 1-line block ×24, first 2 shown]
	v_fma_f16 v42, v42, v33, -v172
	v_fmac_f16_e64 v173, v70, v33
	v_fma_f16 v53, v53, v34, -v174
	v_fmac_f16_e64 v175, v72, v34
	;; [unrolled: 2-line block ×12, first 2 shown]
	v_add_f16_e32 v85, v42, v53
	v_add_f16_e64 v103, v173, v175
	v_add_f16_e64 v165, v43, v54
	;; [unrolled: 1-line block ×3, first 2 shown]
	v_add_f16_e32 v82, v40, v42
	v_sub_f16_e64 v88, v173, v175
	v_add_f16_e64 v90, v68, v173
	v_add_f16_e64 v164, v41, v43
	v_sub_f16_e64 v166, v178, v180
	v_add_f16_e64 v167, v74, v178
	v_add_f16_e64 v171, v60, v62
	v_sub_f16_e64 v172, v182, v184
	v_add_f16_e64 v173, v80, v182
	v_add_f16_e64 v174, v182, v184
	v_add_f16_e64 v178, v61, v63
	v_add_f16_e64 v182, v186, v188
	;; [unrolled: 1-line block ×4, first 2 shown]
	v_sub_f16_e32 v42, v42, v53
	v_sub_f16_e32 v43, v43, v54
	v_add_f16_e64 v170, v58, v60
	v_add_f16_e64 v177, v59, v61
	v_sub_f16_e64 v179, v186, v188
	v_add_f16_e64 v181, v86, v186
	v_sub_f16_e64 v186, v190, v192
	v_add_f16_e64 v187, v93, v190
	v_add_f16_e64 v190, v45, v76
	;; [unrolled: 1-line block ×3, first 2 shown]
	v_sub_f16_e64 v193, v194, v196
	v_add_f16_e64 v195, v169, v194
	v_add_f16_e64 v194, v194, v196
	v_fma_f16 v40, -0.5, v85, v40
	v_fmac_f16_e32 v68, -0.5, v103
	v_fmac_f16_e64 v41, -0.5, v165
	v_fmac_f16_e64 v74, -0.5, v168
	v_sub_f16_e32 v60, v60, v62
	v_sub_f16_e32 v61, v61, v63
	v_add_f16_e32 v53, v82, v53
	v_add_f16_e64 v82, v90, v175
	v_add_f16_e64 v54, v164, v54
	;; [unrolled: 1-line block ×3, first 2 shown]
	v_fma_f16 v58, -0.5, v171, v58
	v_fmac_f16_e64 v80, -0.5, v174
	v_fmac_f16_e64 v59, -0.5, v178
	;; [unrolled: 1-line block ×3, first 2 shown]
	v_add_f16_e64 v183, v44, v70
	v_sub_f16_e32 v70, v70, v72
	v_fma_f16 v44, -0.5, v185, v44
	v_fmac_f16_e64 v93, -0.5, v189
	v_sub_f16_e32 v76, v76, v78
	v_add_f16_e64 v62, v170, v62
	v_add_f16_e64 v90, v173, v184
	;; [unrolled: 1-line block ×5, first 2 shown]
	v_fmac_f16_e64 v45, -0.5, v191
	v_add_f16_e64 v165, v195, v196
	v_fmac_f16_e64 v169, -0.5, v194
	v_fma_f16 v167, 0x3aee, v88, v40
	v_fmac_f16_e32 v40, 0xbaee, v88
	v_fmamk_f16 v88, v42, 0xbaee, v68
	v_fmac_f16_e32 v68, 0x3aee, v42
	v_fma_f16 v42, 0x3aee, v166, v41
	v_fmac_f16_e64 v41, 0xbaee, v166
	v_fma_f16 v166, 0xbaee, v43, v74
	v_fmac_f16_e32 v74, 0x3aee, v43
	v_fma_f16 v43, 0x3aee, v172, v58
	v_fma_f16 v168, 0xbaee, v60, v80
	v_fmac_f16_e32 v80, 0x3aee, v60
	v_fma_f16 v60, 0x3aee, v179, v59
	v_fma_f16 v170, 0xbaee, v61, v86
	v_pack_b32_f16 v53, v53, v82
	v_pack_b32_f16 v54, v54, v85
	v_fmac_f16_e64 v58, 0xbaee, v172
	v_fmac_f16_e64 v59, 0xbaee, v179
	v_fmac_f16_e32 v86, 0x3aee, v61
	v_add_f16_e64 v72, v183, v72
	v_add_f16_e64 v164, v187, v192
	v_fma_f16 v61, 0x3aee, v186, v44
	v_fma_f16 v171, 0xbaee, v70, v93
	v_fmac_f16_e64 v44, 0xbaee, v186
	v_fmac_f16_e32 v93, 0x3aee, v70
	v_fma_f16 v70, 0x3aee, v193, v45
	v_fmac_f16_e64 v45, 0xbaee, v193
	v_fma_f16 v172, 0xbaee, v76, v169
	v_fmac_f16_e64 v169, 0x3aee, v76
	v_pack_b32_f16 v62, v62, v90
	v_pack_b32_f16 v63, v63, v103
	;; [unrolled: 1-line block ×7, first 2 shown]
	ds_store_2addr_b32 v99, v53, v54 offset1:66
	v_pack_b32_f16 v43, v43, v168
	v_pack_b32_f16 v54, v60, v170
	v_pack_b32_f16 v53, v58, v80
	v_pack_b32_f16 v58, v59, v86
	v_pack_b32_f16 v72, v72, v164
	v_pack_b32_f16 v59, v61, v171
	ds_store_2addr_b32 v25, v62, v63 offset0:140 offset1:206
	v_pack_b32_f16 v44, v44, v93
	v_pack_b32_f16 v60, v70, v172
	;; [unrolled: 1-line block ×3, first 2 shown]
	ds_store_2addr_b32 v99, v78, v42 offset0:132 offset1:198
	ds_store_2addr_b32 v25, v40, v41 offset0:8 offset1:74
	;; [unrolled: 1-line block ×5, first 2 shown]
	ds_store_b32 v144, v44 offset:4224
	ds_store_2addr_b32 v66, v76, v60 offset0:24 offset1:156
	ds_store_b32 v147, v45 offset:4224
	global_wb scope:SCOPE_SE
	s_wait_dscnt 0x0
	s_barrier_signal -1
	s_barrier_wait -1
	global_inv scope:SCOPE_SE
	s_clause 0x5
	global_load_b64 v[39:40], v39, s[10:11] offset:1560
	global_load_b64 v[43:44], v51, s[10:11] offset:1560
	;; [unrolled: 1-line block ×6, first 2 shown]
	ds_load_2addr_b32 v[53:54], v99 offset1:66
	ds_load_2addr_b32 v[58:59], v25 offset0:140 offset1:206
	ds_load_2addr_b32 v[60:61], v176 offset0:24 offset1:90
	;; [unrolled: 1-line block ×5, first 2 shown]
	v_lshl_add_u32 v178, v48, 2, v47
	ds_load_2addr_b32 v[47:48], v25 offset0:8 offset1:74
	ds_load_2addr_b32 v[183:184], v57 offset0:148 offset1:214
	;; [unrolled: 1-line block ×3, first 2 shown]
	v_add_nc_u32_e32 v66, 0xc00, v178
	v_add_nc_u32_e32 v68, 0x1000, v178
	;; [unrolled: 1-line block ×3, first 2 shown]
	s_wait_dscnt 0x8
	v_lshrrev_b32_e32 v70, 16, v53
	s_wait_dscnt 0x7
	v_lshrrev_b32_e32 v72, 16, v58
	;; [unrolled: 2-line block ×3, first 2 shown]
	v_lshrrev_b32_e32 v78, 16, v59
	v_lshrrev_b32_e32 v80, 16, v61
	s_wait_dscnt 0x4
	v_lshrrev_b32_e32 v85, 16, v179
	s_wait_dscnt 0x3
	v_lshrrev_b32_e32 v86, 16, v181
	v_lshrrev_b32_e32 v90, 16, v180
	;; [unrolled: 1-line block ×3, first 2 shown]
	s_wait_dscnt 0x1
	v_lshrrev_b32_e32 v177, 16, v183
	s_wait_dscnt 0x0
	v_lshrrev_b32_e32 v187, 16, v185
	v_lshrrev_b32_e32 v189, 16, v184
	;; [unrolled: 1-line block ×8, first 2 shown]
	s_wait_loadcnt 0x5
	v_lshrrev_b32_e32 v175, 16, v39
	v_lshrrev_b32_e32 v174, 16, v40
	s_wait_loadcnt 0x3
	v_lshrrev_b32_e32 v173, 16, v41
	v_lshrrev_b32_e32 v172, 16, v42
	;; [unrolled: 1-line block ×4, first 2 shown]
	s_wait_loadcnt 0x2
	v_lshrrev_b32_e32 v169, 16, v45
	v_lshrrev_b32_e32 v168, 16, v46
	s_wait_loadcnt 0x1
	v_lshrrev_b32_e32 v167, 16, v37
	v_lshrrev_b32_e32 v166, 16, v38
	;; [unrolled: 3-line block ×3, first 2 shown]
	v_mul_f16_e64 v191, v72, v175
	v_mul_f16_e64 v192, v58, v175
	;; [unrolled: 1-line block ×24, first 2 shown]
	v_fma_f16 v58, v58, v39, -v191
	v_fmac_f16_e64 v192, v72, v39
	v_fma_f16 v60, v60, v40, -v193
	v_fmac_f16_e64 v194, v74, v40
	;; [unrolled: 2-line block ×12, first 2 shown]
	v_add_f16_e64 v179, v58, v60
	v_add_f16_e64 v182, v192, v194
	;; [unrolled: 1-line block ×4, first 2 shown]
	v_sub_f16_e64 v180, v192, v194
	v_add_f16_e64 v181, v70, v192
	v_sub_f16_e64 v185, v196, v198
	v_add_f16_e64 v186, v76, v196
	v_add_f16_e64 v190, v72, v74
	v_sub_f16_e64 v191, v200, v202
	v_add_f16_e64 v192, v82, v200
	v_add_f16_e64 v193, v200, v202
	;; [unrolled: 1-line block ×7, first 2 shown]
	v_sub_f16_e64 v211, v212, v214
	v_add_f16_e64 v213, v188, v212
	v_add_f16_e64 v212, v212, v214
	;; [unrolled: 1-line block ×3, first 2 shown]
	v_sub_f16_e32 v58, v58, v60
	v_sub_f16_e64 v197, v204, v206
	v_add_f16_e64 v199, v88, v204
	v_sub_f16_e64 v204, v208, v210
	v_add_f16_e64 v205, v103, v208
	v_add_f16_e64 v208, v48, v90
	v_fma_f16 v53, -0.5, v179, v53
	v_fmac_f16_e64 v70, -0.5, v182
	v_add_f16_e64 v183, v54, v59
	v_sub_f16_e32 v59, v59, v61
	v_fmac_f16_e64 v54, -0.5, v184
	v_fmac_f16_e64 v76, -0.5, v187
	v_add_f16_e64 v189, v62, v72
	v_sub_f16_e32 v72, v72, v74
	v_add_f16_e64 v195, v63, v78
	v_sub_f16_e32 v78, v78, v80
	;; [unrolled: 2-line block ×3, first 2 shown]
	v_sub_f16_e32 v90, v90, v93
	v_fma_f16 v62, -0.5, v190, v62
	v_fmac_f16_e64 v82, -0.5, v193
	v_fmac_f16_e64 v63, -0.5, v196
	;; [unrolled: 1-line block ×3, first 2 shown]
	v_fma_f16 v47, -0.5, v203, v47
	v_fmac_f16_e64 v103, -0.5, v207
	v_fmac_f16_e64 v48, -0.5, v209
	;; [unrolled: 1-line block ×3, first 2 shown]
	v_add_f16_e64 v179, v186, v198
	v_add_f16_e64 v93, v208, v93
	;; [unrolled: 1-line block ×3, first 2 shown]
	v_fma_f16 v186, 0x3aee, v180, v53
	v_fmac_f16_e64 v53, 0xbaee, v180
	v_fma_f16 v180, 0xbaee, v58, v70
	v_fmac_f16_e32 v70, 0x3aee, v58
	v_add_f16_e64 v60, v177, v60
	v_add_f16_e64 v177, v181, v194
	;; [unrolled: 1-line block ×3, first 2 shown]
	v_fma_f16 v58, 0x3aee, v185, v54
	v_fmac_f16_e64 v54, 0xbaee, v185
	v_fma_f16 v185, 0xbaee, v59, v76
	v_add_f16_e64 v74, v189, v74
	v_add_f16_e64 v181, v192, v202
	;; [unrolled: 1-line block ×6, first 2 shown]
	v_fmac_f16_e32 v76, 0x3aee, v59
	v_fma_f16 v59, 0x3aee, v191, v62
	v_fmac_f16_e64 v62, 0xbaee, v191
	v_fma_f16 v187, 0xbaee, v72, v82
	v_fmac_f16_e32 v82, 0x3aee, v72
	v_fma_f16 v72, 0x3aee, v197, v63
	v_fma_f16 v189, 0xbaee, v78, v88
	v_fmac_f16_e32 v88, 0x3aee, v78
	v_fma_f16 v78, 0x3aee, v204, v47
	;; [unrolled: 3-line block ×3, first 2 shown]
	v_fma_f16 v191, 0xbaee, v90, v188
	v_fmac_f16_e64 v63, 0xbaee, v197
	v_fmac_f16_e64 v47, 0xbaee, v204
	;; [unrolled: 1-line block ×4, first 2 shown]
	v_pack_b32_f16 v90, v93, v184
	v_pack_b32_f16 v93, v186, v180
	v_pack_b32_f16 v53, v53, v70
	v_pack_b32_f16 v60, v60, v177
	v_pack_b32_f16 v61, v61, v179
	v_pack_b32_f16 v58, v58, v185
	v_pack_b32_f16 v74, v74, v181
	v_pack_b32_f16 v80, v80, v182
	v_pack_b32_f16 v86, v86, v183
	v_pack_b32_f16 v54, v54, v76
	v_pack_b32_f16 v70, v72, v189
	v_pack_b32_f16 v72, v78, v190
	v_pack_b32_f16 v76, v85, v191
	v_pack_b32_f16 v59, v59, v187
	v_pack_b32_f16 v62, v62, v82
	v_pack_b32_f16 v63, v63, v88
	v_pack_b32_f16 v47, v47, v103
	v_pack_b32_f16 v48, v48, v188
	ds_store_b32 v99, v93 offset:1584
	ds_store_b32 v99, v53 offset:3168
	ds_store_2addr_b32 v99, v60, v61 offset1:66
	ds_store_b32 v99, v58 offset:1848
	ds_store_b32 v99, v54 offset:3432
	ds_store_2addr_b32 v99, v74, v80 offset0:132 offset1:198
	ds_store_2addr_b32 v51, v59, v70 offset0:16 offset1:82
	;; [unrolled: 1-line block ×6, first 2 shown]
	global_wb scope:SCOPE_SE
	s_wait_dscnt 0x0
	s_barrier_signal -1
	s_barrier_wait -1
	global_inv scope:SCOPE_SE
	s_clause 0x11
	global_load_b32 v66, v[21:22], off offset:4752
	global_load_b32 v68, v50, s[0:1] offset:792
	global_load_b32 v70, v50, s[0:1] offset:1584
	;; [unrolled: 1-line block ×17, first 2 shown]
	ds_load_2addr_b32 v[21:22], v99 offset1:66
	ds_load_2addr_b32 v[47:48], v99 offset0:132 offset1:198
	ds_load_2addr_b32 v[50:51], v25 offset0:140 offset1:206
	;; [unrolled: 1-line block ×8, first 2 shown]
	s_wait_dscnt 0x8
	v_lshrrev_b32_e32 v185, 16, v21
	v_lshrrev_b32_e32 v191, 16, v22
	s_wait_dscnt 0x6
	v_lshrrev_b32_e32 v187, 16, v50
	v_lshrrev_b32_e32 v193, 16, v51
	;; [unrolled: 3-line block ×3, first 2 shown]
	v_lshrrev_b32_e32 v186, 16, v48
	v_lshrrev_b32_e32 v197, 16, v47
	;; [unrolled: 1-line block ×3, first 2 shown]
	s_wait_dscnt 0x3
	v_lshrrev_b32_e32 v190, 16, v61
	s_wait_dscnt 0x2
	v_lshrrev_b32_e32 v192, 16, v62
	v_lshrrev_b32_e32 v198, 16, v63
	;; [unrolled: 1-line block ×4, first 2 shown]
	s_wait_dscnt 0x1
	v_lshrrev_b32_e32 v194, 16, v179
	s_wait_dscnt 0x0
	v_lshrrev_b32_e32 v196, 16, v181
	v_lshrrev_b32_e32 v200, 16, v180
	;; [unrolled: 1-line block ×3, first 2 shown]
	s_wait_loadcnt 0x11
	v_lshrrev_b32_e32 v203, 16, v66
	s_wait_loadcnt 0x10
	v_lshrrev_b32_e32 v204, 16, v68
	;; [unrolled: 2-line block ×18, first 2 shown]
	v_mul_f16_e64 v221, v185, v203
	v_mul_f16_e64 v203, v21, v203
	;; [unrolled: 1-line block ×36, first 2 shown]
	v_fma_f16 v21, v21, v66, -v221
	v_fmac_f16_e64 v203, v185, v66
	v_fma_f16 v22, v22, v78, -v227
	v_fmac_f16_e64 v209, v191, v78
	;; [unrolled: 2-line block ×18, first 2 shown]
	v_pack_b32_f16 v21, v21, v203
	v_pack_b32_f16 v22, v22, v209
	;; [unrolled: 1-line block ×18, first 2 shown]
	ds_store_2addr_b32 v99, v21, v22 offset1:66
	ds_store_2addr_b32 v25, v50, v51 offset0:140 offset1:206
	ds_store_2addr_b32 v176, v58, v59 offset0:24 offset1:90
	;; [unrolled: 1-line block ×8, first 2 shown]
	global_wb scope:SCOPE_SE
	s_wait_dscnt 0x0
	s_barrier_signal -1
	s_barrier_wait -1
	global_inv scope:SCOPE_SE
	ds_load_2addr_b32 v[21:22], v99 offset0:132 offset1:198
	ds_load_2addr_b32 v[47:48], v25 offset0:8 offset1:74
	;; [unrolled: 1-line block ×4, first 2 shown]
	ds_load_2addr_b32 v[58:59], v99 offset1:66
	ds_load_2addr_b32 v[60:61], v25 offset0:140 offset1:206
	ds_load_2addr_b32 v[62:63], v176 offset0:24 offset1:90
	;; [unrolled: 1-line block ×4, first 2 shown]
	v_add_nc_u32_e32 v66, 0x200, v99
	v_add_nc_u32_e32 v184, 0x600, v99
	global_wb scope:SCOPE_SE
	s_wait_dscnt 0x0
	s_barrier_signal -1
	s_barrier_wait -1
	global_inv scope:SCOPE_SE
	v_pk_add_f16 v49, v21, v50
	v_pk_add_f16 v68, v48, v54
	v_pk_add_f16 v72, v47, v53
	v_pk_add_f16 v74, v58, v60
	v_pk_add_f16 v78, v60, v62
	v_pk_add_f16 v80, v60, v62 neg_lo:[0,1] neg_hi:[0,1]
	v_pk_add_f16 v60, v51, v180
	v_pk_add_f16 v82, v61, v63
	;; [unrolled: 1-line block ×5, first 2 shown]
	v_pk_add_f16 v86, v53, v181 neg_lo:[0,1] neg_hi:[0,1]
	v_pk_add_f16 v53, v50, v179
	v_pk_add_f16 v88, v54, v182
	v_pk_add_f16 v51, v51, v180 neg_lo:[0,1] neg_hi:[0,1]
	v_pk_add_f16 v49, v49, v179
	v_pk_add_f16 v68, v68, v182
	;; [unrolled: 1-line block ×3, first 2 shown]
	v_pk_fma_f16 v74, v78, 0.5, v58 op_sel_hi:[1,0,1] neg_lo:[1,0,0] neg_hi:[1,0,0]
	v_pk_fma_f16 v22, v60, 0.5, v22 op_sel_hi:[1,0,1] neg_lo:[1,0,0] neg_hi:[1,0,0]
	v_pk_add_f16 v61, v61, v63 neg_lo:[0,1] neg_hi:[0,1]
	v_pk_fma_f16 v59, v82, 0.5, v59 op_sel_hi:[1,0,1] neg_lo:[1,0,0] neg_hi:[1,0,0]
	v_pk_fma_f16 v47, v85, 0.5, v47 op_sel_hi:[1,0,1] neg_lo:[1,0,0] neg_hi:[1,0,0]
	v_pk_add_f16 v50, v50, v179 neg_lo:[0,1] neg_hi:[0,1]
	v_pk_add_f16 v54, v54, v182 neg_lo:[0,1] neg_hi:[0,1]
	v_pk_add_f16 v70, v70, v63
	v_pk_add_f16 v63, v76, v180
	v_pk_fma_f16 v21, v53, 0.5, v21 op_sel_hi:[1,0,1] neg_lo:[1,0,0] neg_hi:[1,0,0]
	v_pk_fma_f16 v76, v88, 0.5, v48 op_sel_hi:[1,0,1] neg_lo:[1,0,0] neg_hi:[1,0,0]
	v_pk_add_f16 v72, v72, v181
	v_pk_add_f16 v53, v49, v68
	v_pk_add_f16 v48, v49, v68 neg_lo:[0,1] neg_hi:[0,1]
	v_pk_fma_f16 v49, 0x3aee, v80, v74 op_sel:[0,0,1] op_sel_hi:[0,1,0] neg_lo:[0,1,0] neg_hi:[0,1,0]
	v_pk_fma_f16 v68, 0x3aee, v80, v74 op_sel:[0,0,1] op_sel_hi:[0,1,0]
	v_pk_fma_f16 v74, 0x3aee, v51, v22 op_sel:[0,0,1] op_sel_hi:[0,1,0]
	v_pk_fma_f16 v22, 0x3aee, v51, v22 op_sel:[0,0,1] op_sel_hi:[0,1,0] neg_lo:[0,1,0] neg_hi:[0,1,0]
	v_pk_fma_f16 v51, 0x3aee, v61, v59 op_sel:[0,0,1] op_sel_hi:[0,1,0] neg_lo:[0,1,0] neg_hi:[0,1,0]
	v_pk_fma_f16 v59, 0x3aee, v61, v59 op_sel:[0,0,1] op_sel_hi:[0,1,0]
	v_pk_fma_f16 v61, 0x3aee, v86, v47 op_sel:[0,0,1] op_sel_hi:[0,1,0]
	v_pk_fma_f16 v47, 0x3aee, v86, v47 op_sel:[0,0,1] op_sel_hi:[0,1,0] neg_lo:[0,1,0] neg_hi:[0,1,0]
	v_pk_add_f16 v60, v62, v63
	v_pk_add_f16 v63, v62, v63 neg_lo:[0,1] neg_hi:[0,1]
	v_pk_fma_f16 v62, 0x3aee, v50, v21 op_sel:[0,0,1] op_sel_hi:[0,1,0] neg_lo:[0,1,0] neg_hi:[0,1,0]
	v_pk_fma_f16 v50, 0x3aee, v50, v21 op_sel:[0,0,1] op_sel_hi:[0,1,0]
	v_pk_fma_f16 v21, 0x3aee, v54, v76 op_sel:[0,0,1] op_sel_hi:[0,1,0]
	v_pk_fma_f16 v54, 0x3aee, v54, v76 op_sel:[0,0,1] op_sel_hi:[0,1,0] neg_lo:[0,1,0] neg_hi:[0,1,0]
	v_pk_add_f16 v58, v70, v72
	v_pk_add_f16 v180, v70, v72 neg_lo:[0,1] neg_hi:[0,1]
	v_lshrrev_b32_e32 v72, 16, v22
	v_mul_f16_e32 v76, 0xbaee, v74
	v_pk_mul_f16 v78, 0x3aee, v22 op_sel_hi:[0,1]
	v_lshrrev_b32_e32 v80, 16, v74
	v_mul_f16_e32 v22, -0.5, v22
	v_pk_mul_f16 v93, 0x3aee, v47 op_sel_hi:[0,1]
	v_lshrrev_b32_e32 v88, 16, v47
	v_lshrrev_b32_e32 v103, 16, v61
	v_mul_f16_e32 v47, -0.5, v47
	v_pk_mul_f16 v185, 0x3aee, v54 op_sel_hi:[0,1]
	v_mul_f16_e32 v90, 0xbaee, v61
	v_lshrrev_b32_e32 v182, 16, v54
	v_mul_f16_e64 v183, 0xbaee, v21
	v_lshrrev_b32_e32 v186, 16, v21
	v_mul_f16_e32 v54, -0.5, v54
	v_fmac_f16_e32 v76, 0.5, v72
	v_pk_fma_f16 v72, 0xb8003800, v74, v78 op_sel:[0,0,1] op_sel_hi:[1,1,0]
	v_pk_fma_f16 v74, 0xb8003800, v74, v78 op_sel:[0,0,1] op_sel_hi:[1,1,0] neg_lo:[0,0,1] neg_hi:[0,0,1]
	v_fmac_f16_e32 v22, 0x3aee, v80
	v_pk_fma_f16 v78, 0xb8003800, v61, v93 op_sel:[0,0,1] op_sel_hi:[1,1,0]
	v_pk_fma_f16 v61, 0xb8003800, v61, v93 op_sel:[0,0,1] op_sel_hi:[1,1,0] neg_lo:[0,0,1] neg_hi:[0,0,1]
	v_lshrrev_b32_e32 v70, 16, v49
	v_fmac_f16_e32 v47, 0x3aee, v103
	v_pk_fma_f16 v80, 0xb8003800, v21, v185 op_sel:[0,0,1] op_sel_hi:[1,1,0]
	v_pk_fma_f16 v21, 0xb8003800, v21, v185 op_sel:[0,0,1] op_sel_hi:[1,1,0] neg_lo:[0,0,1] neg_hi:[0,0,1]
	v_lshrrev_b32_e32 v181, 16, v62
	v_fmac_f16_e32 v90, 0.5, v88
	v_fmac_f16_e64 v183, 0.5, v182
	v_fmac_f16_e64 v54, 0x3aee, v186
	v_bfi_b32 v88, 0xffff, v72, v74
	v_lshrrev_b32_e32 v86, 16, v51
	v_add_f16_e32 v93, v49, v22
	v_alignbit_b32 v22, v22, v74, 16
	v_bfi_b32 v74, 0xffff, v78, v61
	v_alignbit_b32 v82, v68, v49, 16
	v_alignbit_b32 v85, v49, v68, 16
	v_add_f16_e32 v70, v70, v76
	v_pack_b32_f16 v49, v76, v72
	v_add_f16_e32 v76, v51, v47
	v_alignbit_b32 v47, v47, v61, 16
	v_bfi_b32 v61, 0xffff, v80, v21
	v_alignbit_b32 v177, v59, v51, 16
	v_alignbit_b32 v179, v51, v59, 16
	;; [unrolled: 1-line block ×4, first 2 shown]
	v_add_f16_e64 v51, v181, v183
	v_add_f16_e64 v181, v62, v54
	v_pack_b32_f16 v62, v183, v80
	v_pk_add_f16 v68, v68, v88
	v_add_f16_e32 v72, v86, v90
	v_pk_add_f16 v59, v59, v74
	v_pack_b32_f16 v78, v90, v78
	v_alignbit_b32 v54, v54, v21, 16
	v_pk_add_f16 v182, v50, v61
	v_pk_add_f16 v185, v82, v49 neg_lo:[0,1] neg_hi:[0,1]
	v_pk_add_f16 v186, v85, v22 neg_lo:[0,1] neg_hi:[0,1]
	;; [unrolled: 1-line block ×3, first 2 shown]
	v_alignbit_b32 v62, v93, v68, 16
	v_pack_b32_f16 v61, v70, v68
	v_pk_add_f16 v22, v179, v47 neg_lo:[0,1] neg_hi:[0,1]
	v_alignbit_b32 v179, v76, v59, 16
	v_pack_b32_f16 v59, v72, v59
	v_pk_add_f16 v21, v177, v78 neg_lo:[0,1] neg_hi:[0,1]
	v_pk_add_f16 v50, v188, v54 neg_lo:[0,1] neg_hi:[0,1]
	v_alignbit_b32 v47, v181, v182, 16
	v_pack_b32_f16 v54, v51, v182
	ds_store_b64 v56, v[185:186] offset:16
	ds_store_2addr_b64 v56, v[60:61], v[62:63] offset1:1
	ds_store_2addr_b64 v55, v[58:59], v[179:180] offset1:1
	ds_store_b64 v55, v[21:22] offset:16
	ds_store_2addr_b64 v52, v[53:54], v[47:48] offset1:1
	ds_store_b64 v52, v[49:50] offset:16
	global_wb scope:SCOPE_SE
	s_wait_dscnt 0x0
	s_barrier_signal -1
	s_barrier_wait -1
	global_inv scope:SCOPE_SE
	ds_load_2addr_b32 v[54:55], v99 offset1:108
	ds_load_2addr_b32 v[62:63], v66 offset0:88 offset1:196
	ds_load_2addr_b32 v[60:61], v184 offset0:48 offset1:156
	;; [unrolled: 1-line block ×4, first 2 shown]
	ds_load_b32 v183, v99 offset:4320
	v_lshrrev_b32_e32 v177, 16, v22
	v_lshrrev_b32_e32 v52, 16, v182
	v_lshrrev_b32_e32 v179, 16, v49
	v_lshrrev_b32_e32 v180, 16, v50
	s_and_saveexec_b32 s0, vcc_lo
	s_cbranch_execz .LBB0_7
; %bb.6:
	ds_load_2addr_b32 v[47:48], v99 offset0:66 offset1:174
	ds_load_2addr_b32 v[51:52], v25 offset0:26 offset1:134
	;; [unrolled: 1-line block ×3, first 2 shown]
	v_add_nc_u32_e32 v23, 0xa00, v99
	v_add_nc_u32_e32 v24, 0xe00, v99
	ds_load_b32 v142, v99 offset:4584
	s_wait_dscnt 0x3
	v_lshrrev_b32_e32 v177, 16, v47
	s_wait_dscnt 0x2
	v_lshrrev_b32_e32 v182, 16, v51
	s_wait_dscnt 0x1
	v_mov_b32_e32 v49, v22
	v_lshrrev_b32_e32 v179, 16, v22
	v_mov_b32_e32 v22, v47
	ds_load_2addr_b32 v[25:26], v23 offset0:74 offset1:182
	ds_load_2addr_b32 v[23:24], v24 offset0:34 offset1:142
	v_lshrrev_b32_e32 v181, 16, v52
	s_wait_dscnt 0x2
	v_lshrrev_b32_e32 v145, 16, v142
	v_dual_mov_b32 v53, v48 :: v_dual_mov_b32 v48, v21
	s_wait_dscnt 0x1
	v_mov_b32_e32 v50, v25
	v_lshrrev_b32_e32 v180, 16, v25
	v_lshrrev_b32_e32 v141, 16, v26
	s_wait_dscnt 0x0
	v_lshrrev_b32_e32 v143, 16, v23
	v_lshrrev_b32_e32 v146, 16, v24
.LBB0_7:
	s_wait_alu 0xfffe
	s_or_b32 exec_lo, exec_lo, s0
	s_wait_dscnt 0x5
	v_lshrrev_b32_e32 v68, 16, v55
	s_wait_dscnt 0x4
	v_lshrrev_b32_e32 v70, 16, v62
	v_lshrrev_b32_e32 v72, 16, v63
	s_wait_dscnt 0x3
	v_lshrrev_b32_e32 v74, 16, v60
	v_lshrrev_b32_e32 v76, 16, v61
	v_mul_f16_e64 v85, v133, v68
	v_mul_f16_e64 v90, v132, v70
	;; [unrolled: 1-line block ×3, first 2 shown]
	v_lshrrev_b32_e32 v66, 16, v54
	s_wait_dscnt 0x2
	v_lshrrev_b32_e32 v78, 16, v58
	v_fmac_f16_e32 v85, v8, v55
	v_mul_f16_e64 v55, v132, v62
	v_fmac_f16_e32 v90, v9, v62
	v_mul_f16_e64 v62, v131, v72
	v_fma_f16 v8, v8, v68, -v88
	v_mul_f16_e64 v68, v131, v63
	v_fma_f16 v9, v9, v70, -v55
	v_mul_f16_e64 v55, v130, v74
	v_mul_f16_e64 v70, v130, v60
	v_fmac_f16_e32 v62, v10, v63
	v_mul_f16_e64 v63, v129, v76
	v_fma_f16 v10, v10, v72, -v68
	v_fmac_f16_e32 v55, v11, v60
	v_fma_f16 v11, v11, v74, -v70
	v_mul_f16_e64 v60, v129, v61
	v_mul_f16_e32 v68, v125, v78
	v_fmac_f16_e32 v63, v12, v61
	v_add_f16_e32 v61, v54, v85
	v_add_f16_e32 v70, v66, v8
	v_lshrrev_b32_e32 v80, 16, v59
	v_fma_f16 v12, v12, v76, -v60
	v_fmac_f16_e32 v68, v13, v58
	v_mul_f16_e32 v58, v125, v58
	v_add_f16_e32 v60, v61, v90
	v_add_f16_e32 v61, v70, v9
	s_wait_dscnt 0x1
	v_lshrrev_b32_e32 v82, 16, v56
	v_mul_f16_e32 v70, v124, v80
	v_fma_f16 v13, v13, v78, -v58
	v_add_f16_e32 v58, v60, v62
	v_add_f16_e32 v60, v61, v10
	v_mul_f16_e32 v72, v124, v59
	v_fmac_f16_e32 v70, v14, v59
	v_mul_f16_e32 v59, v122, v82
	v_add_f16_e32 v58, v58, v55
	v_add_f16_e32 v60, v60, v11
	v_lshrrev_b32_e32 v86, 16, v57
	v_mul_f16_e32 v61, v122, v56
	v_fmac_f16_e32 v59, v15, v56
	v_add_f16_e32 v56, v58, v63
	v_add_f16_e32 v58, v60, v12
	v_fma_f16 v14, v14, v80, -v72
	v_mul_f16_e32 v72, v118, v86
	s_wait_dscnt 0x0
	v_lshrrev_b32_e32 v93, 16, v183
	v_fma_f16 v15, v15, v82, -v61
	v_add_f16_e32 v58, v58, v13
	v_mul_f16_e64 v60, v119, v183
	v_fmac_f16_e32 v72, v19, v57
	v_mul_f16_e32 v57, v118, v57
	v_add_f16_e32 v56, v56, v68
	v_add_f16_e32 v58, v58, v14
	v_mul_f16_e32 v61, v119, v93
	v_fma_f16 v60, v20, v93, -v60
	v_fma_f16 v19, v19, v86, -v57
	v_add_f16_e32 v56, v56, v70
	v_add_f16_e32 v57, v58, v15
	v_fmac_f16_e64 v61, v20, v183
	v_sub_f16_e32 v20, v8, v60
	v_add_f16_e32 v8, v8, v60
	v_add_f16_e32 v56, v56, v59
	;; [unrolled: 1-line block ×4, first 2 shown]
	v_mul_f16_e32 v74, 0xb853, v20
	v_sub_f16_e32 v76, v85, v61
	v_mul_f16_e32 v78, 0x3abb, v8
	v_add_f16_e32 v57, v57, v60
	v_mul_f16_e32 v60, 0xbb47, v20
	v_mul_f16_e32 v85, 0x36a6, v8
	v_mul_f16_e32 v86, 0xbbeb, v20
	v_mul_f16_e32 v93, 0xb08e, v8
	v_mul_f16_e32 v119, 0xba0c, v20
	v_mul_f16_e32 v122, 0xb93d, v8
	v_mul_f16_e32 v20, 0xb482, v20
	v_mul_f16_e32 v8, 0xbbad, v8
	v_sub_f16_e64 v130, v9, v19
	v_add_f16_e32 v56, v56, v72
	v_fmamk_f16 v80, v58, 0x3abb, v74
	v_fma_f16 v74, v58, 0x3abb, -v74
	v_fmamk_f16 v82, v58, 0x36a6, v60
	v_fma_f16 v60, v58, 0x36a6, -v60
	;; [unrolled: 2-line block ×4, first 2 shown]
	v_fma_f16 v129, 0xbbad, v58, v20
	v_fma_f16 v131, 0x3482, v76, v8
	v_fma_f16 v20, v58, 0xbbad, -v20
	v_add_f16_e32 v9, v9, v19
	v_add_f16_e32 v19, v90, v72
	v_mul_f16_e64 v58, 0xbb47, v130
	v_add_f16_e32 v56, v56, v61
	v_fmamk_f16 v61, v76, 0x3853, v78
	v_add_f16_e32 v80, v54, v80
	v_fmac_f16_e32 v78, 0xb853, v76
	v_fmamk_f16 v88, v76, 0x3b47, v85
	v_fmac_f16_e32 v85, 0xbb47, v76
	v_fmamk_f16 v118, v76, 0x3beb, v93
	;; [unrolled: 2-line block ×3, first 2 shown]
	v_fmac_f16_e32 v122, 0xba0c, v76
	v_fmac_f16_e32 v8, 0xb482, v76
	v_sub_f16_e32 v72, v90, v72
	v_mul_f16_e32 v76, 0x36a6, v9
	v_add_f16_e64 v90, v66, v131
	v_fma_f16 v131, 0x36a6, v19, v58
	v_add_f16_e32 v61, v66, v61
	v_add_f16_e32 v74, v54, v74
	v_add_f16_e32 v78, v66, v78
	v_add_f16_e32 v82, v54, v82
	v_add_f16_e32 v88, v66, v88
	v_add_f16_e32 v60, v54, v60
	v_add_f16_e32 v85, v66, v85
	v_add_f16_e32 v103, v54, v103
	v_add_f16_e32 v118, v66, v118
	v_add_f16_e32 v86, v54, v86
	v_add_f16_e32 v93, v66, v93
	v_add_f16_e32 v124, v54, v124
	v_add_f16_e32 v125, v66, v125
	v_add_f16_e32 v119, v54, v119
	v_add_f16_e32 v122, v66, v122
	v_add_f16_e64 v129, v54, v129
	v_add_f16_e32 v20, v54, v20
	v_add_f16_e32 v8, v66, v8
	v_fmamk_f16 v54, v72, 0x3b47, v76
	v_mul_f16_e64 v66, 0xba0c, v130
	v_add_f16_e64 v80, v131, v80
	v_fma_f16 v58, v19, 0x36a6, -v58
	v_fmac_f16_e32 v76, 0xbb47, v72
	v_mul_f16_e64 v131, 0xb93d, v9
	v_add_f16_e32 v54, v54, v61
	v_fmamk_f16 v61, v19, 0xb93d, v66
	v_add_f16_e32 v58, v58, v74
	v_add_f16_e32 v74, v76, v78
	v_mul_f16_e64 v76, 0x3482, v130
	v_fma_f16 v78, 0x3a0c, v72, v131
	v_fma_f16 v66, v19, 0xb93d, -v66
	v_fmac_f16_e64 v131, 0xba0c, v72
	v_mul_f16_e64 v132, 0xbbad, v9
	v_add_f16_e32 v61, v61, v82
	v_fmamk_f16 v82, v19, 0xbbad, v76
	v_add_f16_e32 v78, v78, v88
	v_add_f16_e32 v60, v66, v60
	v_add_f16_e64 v66, v131, v85
	v_fma_f16 v85, 0xb482, v72, v132
	v_mul_f16_e64 v88, 0x3beb, v130
	v_add_f16_e32 v82, v82, v103
	v_fma_f16 v76, v19, 0xbbad, -v76
	v_mul_f16_e32 v103, 0xb08e, v9
	v_add_f16_e32 v85, v85, v118
	v_fmamk_f16 v118, v19, 0xb08e, v88
	v_mul_f16_e64 v130, 0x3853, v130
	v_fma_f16 v88, v19, 0xb08e, -v88
	v_add_f16_e32 v76, v76, v86
	v_fmamk_f16 v86, v72, 0xbbeb, v103
	v_add_f16_e32 v118, v118, v124
	v_fmac_f16_e32 v103, 0x3beb, v72
	v_fma_f16 v124, 0x3abb, v19, v130
	v_add_f16_e32 v88, v88, v119
	v_sub_f16_e32 v119, v10, v15
	v_add_f16_e32 v86, v86, v125
	v_mul_f16_e32 v9, 0x3abb, v9
	v_add_f16_e32 v103, v103, v122
	v_add_f16_e64 v122, v124, v129
	v_add_f16_e32 v125, v62, v59
	v_mul_f16_e64 v129, 0xbbeb, v119
	v_add_f16_e32 v10, v10, v15
	v_fmamk_f16 v124, v72, 0xb853, v9
	v_fma_f16 v15, v19, 0x3abb, -v130
	v_fmac_f16_e32 v9, 0x3853, v72
	v_sub_f16_e32 v19, v62, v59
	v_fma_f16 v59, 0xb08e, v125, v129
	v_mul_f16_e32 v62, 0xb08e, v10
	v_fmac_f16_e64 v132, 0x3482, v72
	v_add_f16_e32 v72, v124, v90
	v_add_f16_e32 v15, v15, v20
	;; [unrolled: 1-line block ×4, first 2 shown]
	v_fmamk_f16 v20, v19, 0x3beb, v62
	v_mul_f16_e32 v59, 0x3482, v119
	v_fma_f16 v80, v125, 0xb08e, -v129
	v_fmac_f16_e32 v62, 0xbbeb, v19
	v_mul_f16_e32 v90, 0xbbad, v10
	v_add_f16_e32 v20, v20, v54
	v_fmamk_f16 v54, v125, 0xbbad, v59
	v_add_f16_e32 v58, v80, v58
	v_add_f16_e32 v62, v62, v74
	v_fmamk_f16 v74, v19, 0xb482, v90
	v_mul_f16_e32 v80, 0x3b47, v119
	v_add_f16_e32 v54, v54, v61
	v_fma_f16 v59, v125, 0xbbad, -v59
	v_fmac_f16_e32 v90, 0x3482, v19
	v_add_f16_e32 v61, v74, v78
	v_fmamk_f16 v74, v125, 0x36a6, v80
	v_mul_f16_e32 v78, 0x36a6, v10
	v_add_f16_e32 v59, v59, v60
	v_add_f16_e32 v60, v90, v66
	v_mul_f16_e32 v66, 0xb853, v119
	v_add_f16_e32 v74, v74, v82
	v_fmamk_f16 v82, v19, 0xbb47, v78
	v_mul_f16_e32 v124, 0x3abb, v10
	v_add_f16_e64 v93, v132, v93
	v_fma_f16 v80, v125, 0x36a6, -v80
	v_fmac_f16_e32 v78, 0x3b47, v19
	v_fmamk_f16 v90, v125, 0x3abb, v66
	v_add_f16_e32 v82, v82, v85
	v_fmamk_f16 v85, v19, 0x3853, v124
	v_mul_f16_e32 v10, 0xb93d, v10
	v_fma_f16 v66, v125, 0x3abb, -v66
	v_fmac_f16_e32 v124, 0xb853, v19
	v_add_f16_e32 v76, v80, v76
	v_add_f16_e32 v78, v78, v93
	;; [unrolled: 1-line block ×3, first 2 shown]
	v_mul_f16_e32 v90, 0xba0c, v119
	v_fmamk_f16 v93, v19, 0x3a0c, v10
	v_add_f16_e32 v66, v66, v88
	v_add_f16_e32 v88, v124, v103
	v_sub_f16_e32 v103, v11, v14
	v_add_f16_e32 v11, v11, v14
	v_add_f16_e32 v85, v85, v86
	v_fmamk_f16 v86, v125, 0xb93d, v90
	v_add_f16_e32 v72, v93, v72
	v_add_f16_e32 v93, v55, v70
	v_mul_f16_e32 v14, 0xba0c, v103
	v_fma_f16 v90, v125, 0xb93d, -v90
	v_fmac_f16_e32 v10, 0xba0c, v19
	v_sub_f16_e32 v19, v55, v70
	v_mul_f16_e32 v55, 0xb93d, v11
	v_fmamk_f16 v70, v93, 0xb93d, v14
	v_add_f16_e32 v15, v90, v15
	v_add_f16_e32 v8, v10, v8
	v_mul_f16_e32 v10, 0x3beb, v103
	v_fmamk_f16 v90, v19, 0x3a0c, v55
	v_add_f16_e32 v9, v70, v9
	v_fma_f16 v14, v93, 0xb93d, -v14
	v_fmac_f16_e32 v55, 0xba0c, v19
	v_fmamk_f16 v70, v93, 0xb08e, v10
	v_add_f16_e32 v20, v90, v20
	v_mul_f16_e32 v90, 0xb08e, v11
	v_add_f16_e32 v14, v14, v58
	v_add_f16_e32 v55, v55, v62
	;; [unrolled: 1-line block ×3, first 2 shown]
	v_mul_f16_e32 v58, 0xb853, v103
	v_fmamk_f16 v62, v19, 0xbbeb, v90
	v_fma_f16 v10, v93, 0xb08e, -v10
	v_fmac_f16_e32 v90, 0x3beb, v19
	v_mul_f16_e32 v70, 0x3abb, v11
	v_fmamk_f16 v118, v93, 0x3abb, v58
	v_add_f16_e32 v61, v62, v61
	v_add_f16_e32 v10, v10, v59
	;; [unrolled: 1-line block ×3, first 2 shown]
	v_fmamk_f16 v60, v19, 0x3853, v70
	v_add_f16_e32 v62, v118, v74
	v_mul_f16_e32 v74, 0xb482, v103
	v_fma_f16 v58, v93, 0x3abb, -v58
	v_fmac_f16_e32 v70, 0xb853, v19
	v_add_f16_e32 v60, v60, v82
	v_mul_f16_e32 v82, 0xbbad, v11
	v_fmamk_f16 v90, v93, 0xbbad, v74
	v_add_f16_e32 v58, v58, v76
	v_add_f16_e32 v70, v70, v78
	v_mul_f16_e32 v76, 0x3b47, v103
	v_fmamk_f16 v78, v19, 0x3482, v82
	v_add_f16_e32 v86, v86, v122
	v_add_f16_e32 v80, v90, v80
	v_fma_f16 v74, v93, 0xbbad, -v74
	v_fmac_f16_e32 v82, 0xb482, v19
	v_fmamk_f16 v90, v93, 0x36a6, v76
	v_add_f16_e32 v78, v78, v85
	v_mul_f16_e32 v11, 0x36a6, v11
	v_sub_f16_e32 v85, v12, v13
	v_add_f16_e32 v12, v12, v13
	v_add_f16_e32 v66, v74, v66
	;; [unrolled: 1-line block ×4, first 2 shown]
	v_fmamk_f16 v86, v19, 0xbb47, v11
	v_fma_f16 v76, v93, 0x36a6, -v76
	v_add_f16_e32 v13, v63, v68
	v_mul_f16_e32 v88, 0xb482, v85
	v_fmac_f16_e32 v11, 0x3b47, v19
	v_sub_f16_e32 v19, v63, v68
	v_mul_f16_e32 v63, 0xbbad, v12
	v_add_f16_e32 v68, v86, v72
	v_fmamk_f16 v72, v13, 0xbbad, v88
	v_add_f16_e32 v15, v76, v15
	v_add_f16_e32 v8, v11, v8
	v_fmamk_f16 v11, v19, 0x3482, v63
	v_mul_f16_e32 v76, 0x3853, v85
	v_fmac_f16_e32 v63, 0xb482, v19
	v_add_f16_e32 v9, v72, v9
	v_fma_f16 v72, v13, 0xbbad, -v88
	v_add_f16_e32 v11, v11, v20
	v_fmamk_f16 v20, v13, 0x3abb, v76
	v_mul_f16_e32 v86, 0x3abb, v12
	v_add_f16_e32 v55, v63, v55
	v_mul_f16_e32 v63, 0xba0c, v85
	v_add_f16_e32 v14, v72, v14
	v_add_f16_e32 v20, v20, v54
	v_fmamk_f16 v54, v19, 0xb853, v86
	v_fma_f16 v72, v13, 0x3abb, -v76
	v_fmamk_f16 v76, v13, 0xb93d, v63
	v_mul_f16_e32 v88, 0xb93d, v12
	v_fma_f16 v63, v13, 0xb93d, -v63
	v_add_f16_e32 v54, v54, v61
	v_add_f16_e32 v10, v72, v10
	;; [unrolled: 1-line block ×3, first 2 shown]
	v_fmamk_f16 v62, v19, 0x3a0c, v88
	v_mul_f16_e32 v72, 0x3b47, v85
	v_fmac_f16_e32 v88, 0xba0c, v19
	v_mul_f16_e32 v76, 0x36a6, v12
	v_add_f16_e32 v58, v63, v58
	v_add_f16_e32 v60, v62, v60
	v_fmamk_f16 v62, v13, 0x36a6, v72
	v_add_f16_e32 v63, v88, v70
	v_fmamk_f16 v70, v19, 0xbb47, v76
	v_mul_f16_e32 v12, 0xb08e, v12
	v_fma_f16 v72, v13, 0x36a6, -v72
	v_add_f16_e32 v62, v62, v80
	v_mul_f16_e32 v80, 0xbbeb, v85
	v_add_f16_e32 v70, v70, v78
	v_fmamk_f16 v78, v19, 0x3beb, v12
	v_fmac_f16_e32 v12, 0xbbeb, v19
	v_add_f16_e32 v66, v72, v66
	v_fmamk_f16 v72, v13, 0xb08e, v80
	v_fmac_f16_e32 v76, 0x3b47, v19
	v_fma_f16 v13, v13, 0xb08e, -v80
	v_fmac_f16_e32 v86, 0x3853, v19
	v_add_f16_e32 v8, v12, v8
	v_pack_b32_f16 v12, v56, v57
	v_pack_b32_f16 v9, v9, v11
	v_add_f16_e32 v72, v72, v82
	v_add_f16_e32 v68, v78, v68
	;; [unrolled: 1-line block ×5, first 2 shown]
	v_add_nc_u32_e32 v176, 0x210, v178
	v_add_nc_u32_e32 v47, 0x318, v178
	;; [unrolled: 1-line block ×4, first 2 shown]
	global_wb scope:SCOPE_SE
	s_barrier_signal -1
	s_barrier_wait -1
	global_inv scope:SCOPE_SE
	ds_store_2addr_b32 v114, v12, v9 offset1:6
	v_pack_b32_f16 v9, v20, v54
	v_pack_b32_f16 v11, v61, v60
	;; [unrolled: 1-line block ×9, first 2 shown]
	ds_store_2addr_b32 v114, v9, v11 offset0:12 offset1:18
	ds_store_2addr_b32 v114, v12, v15 offset0:24 offset1:30
	;; [unrolled: 1-line block ×4, first 2 shown]
	ds_store_b32 v114, v14 offset:240
	s_and_saveexec_b32 s0, vcc_lo
	s_cbranch_execz .LBB0_9
; %bb.8:
	v_lshrrev_b32_e32 v8, 16, v53
	v_mul_f16_e64 v9, v113, v145
	v_mul_f16_e64 v10, v113, v142
	v_mul_f16_e32 v11, v111, v53
	v_mul_f16_e64 v12, v110, v182
	v_mul_f16_e32 v13, v111, v8
	;; [unrolled: 2-line block ×3, first 2 shown]
	v_fmac_f16_e64 v9, v18, v142
	v_mul_f16_e32 v15, v112, v24
	v_fmac_f16_e32 v13, v4, v53
	v_fma_f16 v10, v18, v145, -v10
	v_fma_f16 v8, v4, v8, -v11
	v_fmac_f16_e32 v12, v5, v51
	v_fmac_f16_e32 v14, v17, v24
	v_sub_f16_e32 v11, v13, v9
	v_fma_f16 v5, v5, v182, -v19
	v_mul_f16_e64 v19, v108, v181
	v_mul_f16_e64 v20, v109, v143
	v_fma_f16 v15, v17, v146, -v15
	v_add_f16_e32 v17, v10, v8
	v_sub_f16_e32 v4, v12, v14
	v_mul_f16_e32 v18, 0xb482, v11
	v_mul_f16_e32 v54, v109, v23
	v_lshrrev_b32_e32 v55, 16, v48
	v_fmac_f16_e32 v19, v6, v52
	v_fmac_f16_e32 v20, v3, v23
	v_mul_f16_e32 v23, v108, v52
	v_mul_f16_e64 v52, v107, v141
	v_add_f16_e32 v24, v15, v5
	v_mul_f16_e32 v51, 0x3853, v4
	v_fmamk_f16 v53, v17, 0xbbad, v18
	v_mul_f16_e32 v57, v106, v55
	v_fma_f16 v6, v6, v181, -v23
	v_fmac_f16_e32 v52, v2, v26
	v_mul_f16_e32 v23, v107, v26
	v_mul_f16_e32 v26, v106, v48
	v_sub_f16_e32 v61, v8, v10
	v_fmamk_f16 v56, v24, 0x3abb, v51
	v_add_f16_e64 v53, v177, v53
	v_fma_f16 v3, v3, v143, -v54
	v_fmac_f16_e32 v57, v7, v48
	v_fma_f16 v2, v2, v141, -v23
	v_fma_f16 v7, v7, v55, -v26
	v_mul_f16_e64 v23, v104, v179
	v_mul_f16_e64 v26, v105, v180
	v_add_f16_e32 v63, v9, v13
	v_mul_f16_e32 v66, 0xb482, v61
	v_sub_f16_e32 v68, v5, v15
	v_add_f16_e32 v53, v56, v53
	v_sub_f16_e32 v56, v19, v20
	v_fmac_f16_e32 v23, v0, v49
	v_fmac_f16_e32 v26, v1, v50
	v_fma_f16 v70, v63, 0xbbad, -v66
	v_add_f16_e32 v72, v14, v12
	v_mul_f16_e32 v74, 0x3853, v68
	v_mul_f16_e32 v50, v105, v50
	v_sub_f16_e32 v76, v6, v3
	v_mul_f16_e32 v49, v104, v49
	v_mul_f16_e32 v48, 0xba0c, v56
	v_add_f16_e32 v54, v3, v6
	v_sub_f16_e32 v58, v57, v52
	v_add_f16_e32 v70, v22, v70
	v_fma_f16 v78, v72, 0x3abb, -v74
	v_add_f16_e32 v80, v20, v19
	v_mul_f16_e32 v82, 0xba0c, v76
	v_fma_f16 v1, v1, v180, -v50
	v_sub_f16_e32 v50, v7, v2
	v_fma_f16 v0, v0, v179, -v49
	v_fma_f16 v18, v17, 0xbbad, -v18
	v_fmac_f16_e32 v66, 0xbbad, v63
	v_fmamk_f16 v55, v54, 0xb93d, v48
	v_mul_f16_e32 v59, 0x3b47, v58
	v_add_f16_e32 v60, v2, v7
	v_add_f16_e32 v49, v78, v70
	v_fma_f16 v70, v80, 0xb93d, -v82
	v_add_f16_e32 v78, v52, v57
	v_mul_f16_e32 v85, 0x3b47, v50
	v_sub_f16_e32 v88, v0, v1
	v_add_f16_e64 v18, v177, v18
	v_fma_f16 v51, v24, 0x3abb, -v51
	v_add_f16_e32 v66, v22, v66
	v_fmac_f16_e32 v74, 0x3abb, v72
	v_add_f16_e32 v53, v55, v53
	v_fmamk_f16 v55, v60, 0x36a6, v59
	v_sub_f16_e32 v62, v23, v26
	v_add_f16_e32 v49, v70, v49
	v_fma_f16 v70, v78, 0x36a6, -v85
	v_add_f16_e32 v90, v26, v23
	v_mul_f16_e32 v93, 0xbbeb, v88
	v_add_f16_e32 v18, v51, v18
	v_fma_f16 v48, v54, 0xb93d, -v48
	v_add_f16_e32 v66, v74, v66
	v_fmac_f16_e32 v82, 0xb93d, v80
	v_add_f16_e32 v53, v55, v53
	v_mul_f16_e32 v55, 0xbbeb, v62
	v_add_f16_e32 v86, v1, v0
	v_add_f16_e32 v49, v70, v49
	v_fma_f16 v70, v90, 0xb08e, -v93
	v_mul_f16_e32 v51, 0xb93d, v17
	v_add_f16_e32 v18, v48, v18
	v_fma_f16 v48, v60, 0x36a6, -v59
	v_add_f16_e32 v66, v82, v66
	v_fmac_f16_e32 v85, 0x36a6, v78
	v_fmamk_f16 v103, v86, 0xb08e, v55
	v_add_f16_e32 v49, v70, v49
	v_fmamk_f16 v59, v11, 0x3a0c, v51
	v_mul_f16_e32 v70, 0xb08e, v24
	v_add_f16_e32 v18, v48, v18
	v_fma_f16 v55, v86, 0xb08e, -v55
	v_add_f16_e32 v66, v85, v66
	v_fmac_f16_e32 v93, 0xb08e, v90
	v_mul_f16_e32 v85, 0xba0c, v61
	v_add_f16_e64 v48, v177, v59
	v_fmamk_f16 v59, v4, 0xbbeb, v70
	v_mul_f16_e32 v74, 0x3abb, v54
	v_add_f16_e32 v18, v55, v18
	v_add_f16_e32 v55, v93, v66
	v_fmamk_f16 v66, v63, 0xb93d, v85
	v_mul_f16_e32 v93, 0x3beb, v68
	v_add_f16_e32 v48, v59, v48
	v_fmamk_f16 v59, v56, 0x3853, v74
	v_mul_f16_e32 v82, 0xbbad, v60
	;; [unrolled: 3-line block ×5, first 2 shown]
	v_add_f16_e32 v48, v59, v48
	v_mul_f16_e32 v59, 0x36a6, v86
	v_mul_f16_e32 v114, 0xbbeb, v61
	v_add_f16_e32 v66, v104, v66
	v_fmamk_f16 v104, v78, 0xbbad, v109
	v_mul_f16_e32 v122, 0x3b47, v76
	v_fmamk_f16 v106, v62, 0xbb47, v59
	v_mul_f16_e64 v130, 0xb853, v50
	v_add_f16_e32 v13, v22, v13
	v_add_f16_e32 v66, v104, v66
	v_fmamk_f16 v104, v90, 0x36a6, v112
	v_add_f16_e32 v48, v106, v48
	v_mul_f16_e32 v106, 0x3482, v68
	v_add_f16_e64 v8, v8, v177
	v_add_f16_e32 v12, v12, v13
	v_add_f16_e32 v66, v104, v66
	v_fmamk_f16 v104, v63, 0xb08e, v114
	v_fmamk_f16 v119, v72, 0xbbad, v106
	v_add_f16_e32 v5, v5, v8
	v_add_f16_e32 v12, v19, v12
	v_mul_f16_e64 v143, 0xba0c, v68
	v_add_f16_e32 v104, v22, v104
	v_mul_f16_e32 v68, 0xbb47, v68
	v_add_f16_e32 v5, v6, v5
	v_add_f16_e32 v12, v57, v12
	v_mul_f16_e32 v19, 0xbbeb, v76
	v_add_f16_e32 v104, v119, v104
	v_fmamk_f16 v119, v80, 0x36a6, v122
	v_add_f16_e32 v5, v7, v5
	v_add_f16_e32 v12, v23, v12
	v_mul_f16_e32 v7, 0xba0c, v50
	v_add_f16_e32 v53, v103, v53
	v_add_f16_e32 v104, v119, v104
	v_fma_f16 v119, 0x3abb, v78, v130
	v_add_f16_e32 v0, v0, v5
	v_add_f16_e32 v12, v26, v12
	v_fmamk_f16 v5, v78, 0xb93d, v7
	v_mul_f16_e32 v103, 0xb08e, v17
	v_add_f16_e32 v104, v119, v104
	v_mul_f16_e32 v119, 0xbb47, v61
	v_mul_f16_e32 v61, 0xb853, v61
	v_add_f16_e32 v0, v1, v0
	v_add_f16_e32 v12, v52, v12
	v_mul_f16_e32 v118, 0x36a6, v17
	v_mul_f16_e32 v17, 0x3abb, v17
	v_fmamk_f16 v13, v63, 0x3abb, v61
	v_add_f16_e32 v0, v2, v0
	v_add_f16_e32 v12, v20, v12
	v_fmamk_f16 v107, v11, 0x3beb, v103
	v_fma_f16 v146, 0x3853, v11, v17
	v_add_f16_e32 v8, v22, v13
	v_fmamk_f16 v13, v72, 0x36a6, v68
	v_add_f16_e32 v0, v3, v0
	v_fma_f16 v3, v63, 0xb93d, -v85
	v_fmac_f16_e32 v17, 0xb853, v11
	v_mul_f16_e32 v108, 0xbbad, v24
	v_add_f16_e32 v8, v13, v8
	v_fmamk_f16 v13, v80, 0xb08e, v19
	v_add_f16_e32 v3, v22, v3
	v_add_f16_e32 v0, v15, v0
	v_fma_f16 v15, v72, 0xb93d, -v143
	v_add_f16_e64 v107, v177, v107
	v_add_f16_e32 v8, v13, v8
	v_mul_f16_e32 v13, 0xb482, v88
	v_fmamk_f16 v110, v4, 0xb482, v108
	v_mul_f16_e32 v111, 0x36a6, v54
	v_mul_f16_e32 v113, 0x3abb, v60
	v_add_f16_e32 v5, v5, v8
	v_fmamk_f16 v8, v90, 0xbbad, v13
	v_add_f16_e32 v107, v110, v107
	v_fmamk_f16 v110, v56, 0xbb47, v111
	v_fmamk_f16 v125, v11, 0x3b47, v118
	v_mul_f16_e64 v129, 0xb93d, v24
	v_add_f16_e32 v2, v8, v5
	v_add_f16_e32 v5, v14, v12
	v_fma_f16 v8, v72, 0xb08e, -v93
	v_fma_f16 v12, v72, 0xbbad, -v106
	v_add_f16_e32 v107, v110, v107
	v_fmamk_f16 v110, v58, 0x3853, v113
	v_add_f16_e32 v5, v9, v5
	v_add_f16_e32 v3, v8, v3
	v_fma_f16 v8, v80, 0x3abb, -v105
	v_fma_f16 v9, v63, 0xb08e, -v114
	v_add_f16_e32 v107, v110, v107
	v_mul_f16_e32 v110, 0xb93d, v86
	v_add_f16_e64 v125, v177, v125
	v_add_f16_e32 v3, v8, v3
	v_fma_f16 v8, v78, 0xbbad, -v109
	v_add_f16_e32 v9, v22, v9
	v_fma_f16 v131, 0x3a0c, v4, v129
	v_mul_f16_e64 v132, 0xbbad, v54
	v_fmamk_f16 v124, v62, 0x3a0c, v110
	v_add_f16_e32 v3, v8, v3
	v_fma_f16 v8, v90, 0x36a6, -v112
	v_add_f16_e32 v9, v12, v9
	v_fma_f16 v12, v80, 0x36a6, -v122
	v_mul_f16_e64 v133, 0xba0c, v88
	v_add_f16_e64 v125, v131, v125
	v_add_f16_e32 v3, v8, v3
	v_fma_f16 v131, 0xb482, v56, v132
	v_add_f16_e32 v8, v12, v9
	v_fma_f16 v9, v78, 0x3abb, -v130
	v_mul_f16_e64 v141, 0xb08e, v60
	v_fma_f16 v142, 0xb93d, v90, v133
	v_add_f16_e64 v125, v131, v125
	v_add_f16_e32 v107, v124, v107
	v_add_f16_e32 v8, v9, v8
	v_fma_f16 v9, v63, 0x36a6, -v119
	v_fma_f16 v131, 0xbbeb, v58, v141
	v_fmamk_f16 v124, v63, 0x36a6, v119
	v_add_f16_e64 v104, v142, v104
	v_mul_f16_e64 v142, 0x3482, v76
	v_add_f16_e32 v9, v22, v9
	v_add_f16_e64 v125, v131, v125
	v_add_f16_e32 v124, v22, v124
	v_fma_f16 v131, 0xb93d, v72, v143
	v_mul_f16_e32 v24, 0x36a6, v24
	v_add_f16_e32 v9, v15, v9
	v_add_f16_e64 v15, v177, v17
	scratch_load_b32 v17, off, off th:TH_LOAD_LU ; 4-byte Folded Reload
	v_fma_f16 v14, v90, 0xb93d, -v133
	v_add_f16_e64 v124, v131, v124
	v_fma_f16 v131, 0xbbad, v80, v142
	v_mul_f16_e64 v178, 0x3beb, v50
	v_add_f16_e64 v146, v177, v146
	v_fma_f16 v179, 0x3b47, v4, v24
	v_mul_f16_e32 v54, 0xb08e, v54
	v_fmac_f16_e32 v51, 0xba0c, v11
	v_fmac_f16_e32 v103, 0xbbeb, v11
	v_fmac_f16_e32 v118, 0xbb47, v11
	v_add_f16_e32 v8, v14, v8
	v_fma_f16 v11, v80, 0xbbad, -v142
	v_fma_f16 v14, v63, 0x3abb, -v61
	v_add_f16_e64 v124, v131, v124
	v_fma_f16 v131, 0xb08e, v78, v178
	v_mul_f16_e64 v180, 0x3853, v88
	v_add_f16_e64 v146, v179, v146
	v_fma_f16 v179, 0x3beb, v56, v54
	v_mul_f16_e32 v60, 0xb93d, v60
	v_fmac_f16_e32 v24, 0xbb47, v4
	v_add_f16_e64 v1, v177, v51
	v_fmac_f16_e32 v70, 0x3beb, v4
	v_add_f16_e32 v0, v10, v0
	v_add_f16_e64 v10, v177, v103
	v_fmac_f16_e32 v108, 0x3482, v4
	v_add_f16_e64 v12, v177, v118
	v_fmac_f16_e64 v129, 0xba0c, v4
	v_add_f16_e32 v4, v11, v9
	v_add_f16_e32 v9, v22, v14
	v_fma_f16 v11, v72, 0x36a6, -v68
	v_mul_f16_e64 v145, 0x3abb, v86
	v_add_f16_e64 v124, v131, v124
	v_fma_f16 v131, 0x3abb, v90, v180
	v_add_f16_e64 v146, v179, v146
	v_fma_f16 v179, 0x3a0c, v58, v60
	v_mul_f16_e32 v86, 0xbbad, v86
	v_fma_f16 v14, v78, 0xb08e, -v178
	v_add_f16_e32 v15, v24, v15
	v_fmac_f16_e32 v54, 0xbbeb, v56
	v_add_f16_e32 v1, v70, v1
	v_fmac_f16_e32 v74, 0xb853, v56
	;; [unrolled: 2-line block ×3, first 2 shown]
	v_add_f16_e64 v12, v129, v12
	v_fmac_f16_e64 v132, 0x3482, v56
	v_add_f16_e32 v9, v11, v9
	v_fma_f16 v11, v80, 0xb08e, -v19
	v_add_f16_e64 v124, v131, v124
	v_add_f16_e64 v131, v179, v146
	v_fmamk_f16 v6, v62, 0x3482, v86
	v_add_f16_e32 v4, v14, v4
	v_add_f16_e32 v14, v54, v15
	v_mul_u32_u24_e32 v15, 0x42, v115
	v_add_f16_e32 v1, v74, v1
	v_fmac_f16_e32 v82, 0xb482, v58
	v_add_f16_e32 v10, v111, v10
	v_fmac_f16_e32 v113, 0xb853, v58
	v_add_f16_e64 v12, v132, v12
	v_fmac_f16_e64 v141, 0x3beb, v58
	v_fmac_f16_e32 v60, 0xba0c, v58
	v_add_f16_e32 v9, v11, v9
	v_fma_f16 v7, v78, 0xb93d, -v7
	v_fma_f16 v181, 0xb853, v62, v145
	v_add_f16_e64 v6, v6, v131
	v_add_f16_e32 v1, v82, v1
	v_fmac_f16_e32 v59, 0x3b47, v62
	v_add_f16_e32 v10, v113, v10
	v_fmac_f16_e32 v110, 0xba0c, v62
	v_add_f16_e64 v12, v141, v12
	v_fmac_f16_e64 v145, 0x3853, v62
	v_fma_f16 v11, v90, 0x3abb, -v180
	v_add_f16_e32 v14, v60, v14
	v_fmac_f16_e32 v86, 0xb482, v62
	v_add_f16_e32 v7, v7, v9
	v_fma_f16 v9, v90, 0xbbad, -v13
	v_add_f16_e64 v125, v181, v125
	v_pack_b32_f16 v0, v5, v0
	v_pack_b32_f16 v2, v2, v6
	v_add_f16_e32 v1, v59, v1
	v_add_f16_e32 v10, v110, v10
	v_add_f16_e64 v5, v145, v12
	v_add_f16_e32 v4, v11, v4
	v_add_f16_e32 v6, v86, v14
	;; [unrolled: 1-line block ×3, first 2 shown]
	v_pack_b32_f16 v9, v66, v48
	v_pack_b32_f16 v11, v55, v18
	;; [unrolled: 1-line block ×7, first 2 shown]
	s_wait_loadcnt 0x0
	v_add_nc_u32_e32 v15, v15, v17
	s_delay_alu instid0(VALU_DEP_1)
	v_lshl_add_u32 v13, v15, 2, v102
	ds_store_2addr_b32 v13, v0, v2 offset1:6
	v_pack_b32_f16 v0, v124, v125
	v_pack_b32_f16 v2, v104, v107
	ds_store_2addr_b32 v13, v0, v2 offset0:12 offset1:18
	ds_store_2addr_b32 v13, v9, v11 offset0:24 offset1:30
	;; [unrolled: 1-line block ×4, first 2 shown]
	ds_store_b32 v13, v5 offset:240
.LBB0_9:
	s_wait_alu 0xfffe
	s_or_b32 exec_lo, exec_lo, s0
	v_add_nc_u32_e32 v11, 0x800, v99
	v_add_nc_u32_e32 v0, 0xc00, v99
	;; [unrolled: 1-line block ×3, first 2 shown]
	global_wb scope:SCOPE_SE
	s_wait_dscnt 0x0
	s_barrier_signal -1
	s_barrier_wait -1
	global_inv scope:SCOPE_SE
	ds_load_2addr_b32 v[1:2], v99 offset1:66
	ds_load_2addr_b32 v[3:4], v99 offset0:132 offset1:198
	ds_load_2addr_b32 v[5:6], v11 offset0:16 offset1:82
	;; [unrolled: 1-line block ×6, first 2 shown]
	v_add_nc_u32_e32 v10, 0x1000, v99
	ds_load_2addr_b32 v[22:23], v12 offset0:140 offset1:206
	ds_load_2addr_b32 v[48:49], v10 offset0:32 offset1:98
	global_wb scope:SCOPE_SE
	s_wait_dscnt 0x0
	s_barrier_signal -1
	s_barrier_wait -1
	global_inv scope:SCOPE_SE
	s_mov_b32 s8, 0x2b18ff23
	s_mov_b32 s9, 0x3f4b951e
	v_lshrrev_b32_e32 v50, 16, v6
	v_lshrrev_b32_e32 v51, 16, v7
	v_lshrrev_b32_e32 v52, 16, v8
	v_mul_f16_e64 v68, v148, v6
	v_lshrrev_b32_e32 v53, 16, v13
	v_mul_f16_e64 v61, v148, v50
	v_mul_f16_e64 v70, v148, v7
	;; [unrolled: 1-line block ×3, first 2 shown]
	v_fma_f16 v50, v116, v50, -v68
	v_mul_f16_e64 v68, v155, v8
	v_fmac_f16_e32 v61, v116, v6
	v_mul_f16_e64 v6, v148, v51
	v_lshrrev_b32_e32 v55, 16, v14
	v_lshrrev_b32_e32 v57, 16, v19
	v_fmac_f16_e64 v72, v128, v8
	v_mul_f16_e64 v8, v154, v53
	v_fmac_f16_e32 v6, v116, v7
	v_fma_f16 v7, v116, v51, -v70
	v_fma_f16 v51, v128, v52, -v68
	v_mul_f16_e64 v52, v154, v13
	v_lshrrev_b32_e32 v59, 16, v20
	v_lshrrev_b32_e32 v62, 16, v48
	v_mul_f16_e64 v68, v153, v55
	v_mul_f16_e64 v70, v153, v14
	v_fmac_f16_e32 v8, v127, v13
	v_mul_f16_e64 v13, v152, v57
	v_fma_f16 v52, v127, v53, -v52
	v_mul_f16_e64 v53, v152, v19
	v_lshrrev_b32_e32 v66, 16, v49
	v_fmac_f16_e32 v68, v126, v14
	v_fma_f16 v14, v126, v55, -v70
	v_fmac_f16_e32 v13, v123, v19
	v_mul_f16_e64 v19, v151, v59
	v_mul_f16_e64 v55, v151, v20
	;; [unrolled: 1-line block ×3, first 2 shown]
	v_fma_f16 v53, v123, v57, -v53
	v_mul_f16_e64 v57, v150, v48
	v_lshrrev_b32_e32 v9, 16, v1
	v_lshrrev_b32_e32 v15, 16, v2
	;; [unrolled: 1-line block ×3, first 2 shown]
	v_fmac_f16_e32 v19, v121, v20
	v_fma_f16 v20, v121, v59, -v55
	v_fmac_f16_e32 v70, v120, v48
	v_mul_f16_e64 v48, v149, v66
	v_fma_f16 v55, v120, v62, -v57
	v_mul_f16_e64 v57, v149, v49
	v_lshrrev_b32_e32 v26, 16, v4
	v_lshrrev_b32_e32 v54, 16, v17
	v_sub_f16_e32 v59, v1, v61
	v_sub_f16_e32 v50, v9, v50
	v_lshrrev_b32_e32 v56, 16, v18
	v_sub_f16_e32 v6, v2, v6
	v_sub_f16_e32 v7, v15, v7
	v_lshrrev_b32_e32 v58, 16, v22
	v_fmac_f16_e32 v48, v117, v49
	v_fma_f16 v49, v117, v66, -v57
	v_sub_f16_e32 v57, v3, v72
	v_sub_f16_e32 v51, v24, v51
	v_lshrrev_b32_e32 v60, 16, v23
	v_sub_f16_e32 v8, v4, v8
	v_sub_f16_e32 v52, v26, v52
	v_lshrrev_b32_e32 v63, 16, v5
	v_fma_f16 v1, v1, 2.0, -v59
	v_fma_f16 v9, v9, 2.0, -v50
	v_sub_f16_e32 v61, v17, v68
	v_sub_f16_e32 v14, v54, v14
	v_fma_f16 v2, v2, 2.0, -v6
	v_fma_f16 v15, v15, 2.0, -v7
	v_sub_f16_e32 v13, v18, v13
	v_sub_f16_e32 v53, v56, v53
	;; [unrolled: 4-line block ×4, first 2 shown]
	v_sub_f16_e32 v48, v5, v48
	v_sub_f16_e32 v49, v63, v49
	v_fma_f16 v17, v17, 2.0, -v61
	v_fma_f16 v54, v54, 2.0, -v14
	v_pack_b32_f16 v1, v1, v9
	v_pack_b32_f16 v9, v59, v50
	v_fma_f16 v18, v18, 2.0, -v13
	v_fma_f16 v56, v56, 2.0, -v53
	v_pack_b32_f16 v2, v2, v15
	v_pack_b32_f16 v6, v6, v7
	;; [unrolled: 4-line block ×3, first 2 shown]
	v_add_nc_u32_e32 v15, 0x400, v139
	v_fma_f16 v23, v23, 2.0, -v62
	v_fma_f16 v60, v60, 2.0, -v55
	v_pack_b32_f16 v4, v4, v26
	v_pack_b32_f16 v8, v8, v52
	v_add_nc_u32_e32 v24, 0x400, v140
	v_fma_f16 v5, v5, 2.0, -v48
	v_fma_f16 v63, v63, 2.0, -v49
	ds_store_2addr_b32 v99, v1, v9 offset1:66
	ds_store_2addr_b32 v99, v2, v6 offset0:132 offset1:198
	ds_store_2addr_b32 v15, v3, v7 offset0:8 offset1:74
	ds_store_2addr_b32 v24, v4, v8 offset0:140 offset1:206
	v_pack_b32_f16 v1, v17, v54
	v_pack_b32_f16 v2, v61, v14
	v_add_nc_u32_e32 v3, 0x800, v138
	v_pack_b32_f16 v4, v18, v56
	v_pack_b32_f16 v6, v13, v53
	v_add_nc_u32_e32 v7, 0x800, v137
	v_pack_b32_f16 v8, v22, v58
	v_pack_b32_f16 v9, v19, v20
	v_add_nc_u32_e32 v13, 0xc00, v136
	v_pack_b32_f16 v14, v23, v60
	v_pack_b32_f16 v15, v62, v55
	v_add_nc_u32_e32 v17, 0xc00, v135
	v_pack_b32_f16 v5, v5, v63
	v_pack_b32_f16 v18, v48, v49
	v_add_nc_u32_e32 v19, 0x1000, v134
	ds_store_2addr_b32 v3, v1, v2 offset0:16 offset1:82
	ds_store_2addr_b32 v7, v4, v6 offset0:148 offset1:214
	;; [unrolled: 1-line block ×5, first 2 shown]
	global_wb scope:SCOPE_SE
	s_wait_dscnt 0x0
	s_barrier_signal -1
	s_barrier_wait -1
	global_inv scope:SCOPE_SE
	ds_load_2addr_b32 v[1:2], v99 offset1:66
	ds_load_2addr_b32 v[3:4], v12 offset0:140 offset1:206
	ds_load_2addr_b32 v[5:6], v0 offset0:24 offset1:90
	;; [unrolled: 1-line block ×8, first 2 shown]
	global_wb scope:SCOPE_SE
	s_wait_dscnt 0x0
	s_barrier_signal -1
	s_barrier_wait -1
	global_inv scope:SCOPE_SE
	v_lshrrev_b32_e32 v9, 16, v1
	v_lshrrev_b32_e32 v15, 16, v3
	;; [unrolled: 1-line block ×4, first 2 shown]
	v_mul_f16_e64 v66, v163, v3
	v_lshrrev_b32_e32 v51, 16, v6
	v_mul_f16_e64 v62, v163, v15
	v_mul_f16_e64 v70, v162, v24
	v_lshrrev_b32_e32 v53, 16, v13
	v_fma_f16 v15, v33, v15, -v66
	v_mul_f16_e64 v66, v161, v50
	v_fmac_f16_e32 v62, v33, v3
	v_mul_f16_e64 v3, v162, v5
	v_fmac_f16_e32 v70, v34, v5
	v_mul_f16_e64 v5, v161, v4
	v_lshrrev_b32_e32 v54, 16, v17
	v_fmac_f16_e32 v66, v31, v4
	v_fma_f16 v3, v34, v24, -v3
	v_mul_f16_e64 v24, v160, v51
	v_mul_f16_e64 v4, v160, v6
	v_fma_f16 v5, v31, v50, -v5
	v_mul_f16_e64 v50, v163, v53
	v_lshrrev_b32_e32 v56, 16, v14
	v_lshrrev_b32_e32 v57, 16, v18
	v_fmac_f16_e32 v24, v32, v6
	v_mul_f16_e64 v6, v163, v13
	v_fma_f16 v4, v32, v51, -v4
	v_mul_f16_e64 v51, v162, v54
	v_fmac_f16_e32 v50, v33, v13
	v_mul_f16_e64 v13, v162, v17
	v_lshrrev_b32_e32 v59, 16, v22
	v_fma_f16 v6, v33, v53, -v6
	v_mul_f16_e64 v33, v161, v56
	v_fmac_f16_e32 v51, v34, v17
	v_mul_f16_e64 v17, v161, v14
	v_fma_f16 v13, v34, v54, -v13
	v_mul_f16_e64 v34, v160, v57
	v_lshrrev_b32_e32 v60, 16, v48
	v_lshrrev_b32_e32 v63, 16, v23
	v_fmac_f16_e32 v33, v31, v14
	v_mul_f16_e64 v14, v160, v18
	v_fma_f16 v17, v31, v56, -v17
	v_mul_f16_e64 v31, v159, v59
	v_fmac_f16_e32 v34, v32, v18
	v_mul_f16_e64 v18, v159, v22
	v_lshrrev_b32_e32 v68, 16, v49
	v_fma_f16 v14, v32, v57, -v14
	v_mul_f16_e64 v32, v158, v60
	v_fmac_f16_e32 v31, v29, v22
	v_mul_f16_e64 v22, v158, v48
	v_fma_f16 v18, v29, v59, -v18
	v_mul_f16_e64 v29, v157, v63
	v_fmac_f16_e32 v32, v30, v48
	v_mul_f16_e64 v48, v157, v23
	;; [unrolled: 4-line block ×3, first 2 shown]
	v_fma_f16 v27, v27, v63, -v48
	v_add_f16_e32 v48, v62, v70
	v_fmac_f16_e32 v30, v28, v49
	v_add_f16_e32 v49, v1, v62
	v_fma_f16 v23, v28, v68, -v23
	v_add_f16_e32 v28, v15, v3
	v_fma_f16 v1, -0.5, v48, v1
	v_sub_f16_e32 v48, v15, v3
	v_add_f16_e32 v15, v9, v15
	v_lshrrev_b32_e32 v26, 16, v2
	v_fmac_f16_e32 v9, -0.5, v28
	v_sub_f16_e32 v28, v62, v70
	v_fmamk_f16 v53, v48, 0xbaee, v1
	v_fmac_f16_e32 v1, 0x3aee, v48
	v_add_f16_e32 v3, v15, v3
	v_add_f16_e32 v15, v66, v24
	v_fmamk_f16 v48, v28, 0x3aee, v9
	v_add_f16_e32 v54, v2, v66
	v_fmac_f16_e32 v9, 0xbaee, v28
	v_add_f16_e32 v28, v5, v4
	v_fmac_f16_e32 v2, -0.5, v15
	v_sub_f16_e32 v15, v5, v4
	v_add_f16_e32 v54, v54, v24
	v_add_f16_e32 v5, v26, v5
	v_fmac_f16_e32 v26, -0.5, v28
	v_sub_f16_e32 v24, v66, v24
	v_lshrrev_b32_e32 v52, 16, v7
	v_fmamk_f16 v28, v15, 0xbaee, v2
	v_fmac_f16_e32 v2, 0x3aee, v15
	v_add_f16_e32 v4, v5, v4
	v_add_f16_e32 v5, v50, v51
	v_fmamk_f16 v15, v24, 0x3aee, v26
	v_fmac_f16_e32 v26, 0xbaee, v24
	v_add_f16_e32 v24, v6, v13
	v_add_f16_e32 v56, v7, v50
	v_fma_f16 v5, -0.5, v5, v7
	v_sub_f16_e32 v7, v6, v13
	v_add_f16_e32 v6, v52, v6
	v_fmac_f16_e32 v52, -0.5, v24
	v_sub_f16_e32 v24, v50, v51
	v_lshrrev_b32_e32 v55, 16, v8
	v_fmamk_f16 v50, v7, 0xbaee, v5
	v_fmac_f16_e32 v5, 0x3aee, v7
	v_add_f16_e32 v6, v6, v13
	v_add_f16_e32 v7, v33, v34
	v_fmamk_f16 v13, v24, 0x3aee, v52
	v_fmac_f16_e32 v52, 0xbaee, v24
	v_add_f16_e32 v24, v17, v14
	v_add_f16_e32 v56, v56, v51
	;; [unrolled: 1-line block ×3, first 2 shown]
	v_fmac_f16_e32 v8, -0.5, v7
	v_sub_f16_e32 v7, v17, v14
	v_add_f16_e32 v17, v55, v17
	v_fmac_f16_e32 v55, -0.5, v24
	v_sub_f16_e32 v24, v33, v34
	v_lshrrev_b32_e32 v58, 16, v19
	v_fmamk_f16 v33, v7, 0xbaee, v8
	v_fmac_f16_e32 v8, 0x3aee, v7
	v_add_f16_e32 v7, v17, v14
	v_add_f16_e32 v14, v31, v32
	v_fmamk_f16 v17, v24, 0x3aee, v55
	v_fmac_f16_e32 v55, 0xbaee, v24
	v_add_f16_e32 v24, v18, v22
	v_add_f16_e32 v51, v51, v34
	;; [unrolled: 1-line block ×3, first 2 shown]
	v_fma_f16 v14, -0.5, v14, v19
	v_sub_f16_e32 v19, v18, v22
	v_add_f16_e32 v18, v58, v18
	v_fmac_f16_e32 v58, -0.5, v24
	v_sub_f16_e32 v24, v31, v32
	v_lshrrev_b32_e32 v61, 16, v20
	v_add_f16_e32 v49, v49, v70
	v_fmamk_f16 v31, v19, 0xbaee, v14
	v_fmac_f16_e32 v14, 0x3aee, v19
	v_add_f16_e32 v18, v18, v22
	v_add_f16_e32 v19, v29, v30
	v_fmamk_f16 v22, v24, 0x3aee, v58
	v_fmac_f16_e32 v58, 0xbaee, v24
	v_add_f16_e32 v24, v27, v23
	v_add_f16_e32 v34, v34, v32
	;; [unrolled: 1-line block ×3, first 2 shown]
	v_fmac_f16_e32 v20, -0.5, v19
	v_sub_f16_e32 v19, v27, v23
	v_add_f16_e32 v27, v61, v27
	v_fmac_f16_e32 v61, -0.5, v24
	v_sub_f16_e32 v24, v29, v30
	v_pack_b32_f16 v3, v49, v3
	v_pack_b32_f16 v4, v54, v4
	v_add_f16_e32 v29, v32, v30
	v_fmamk_f16 v30, v19, 0xbaee, v20
	v_fmac_f16_e32 v20, 0x3aee, v19
	v_add_f16_e32 v19, v27, v23
	v_fmamk_f16 v23, v24, 0x3aee, v61
	v_fmac_f16_e32 v61, 0xbaee, v24
	v_pack_b32_f16 v24, v53, v48
	ds_store_2addr_b32 v99, v3, v4 offset1:66
	v_pack_b32_f16 v3, v28, v15
	v_pack_b32_f16 v1, v1, v9
	v_pack_b32_f16 v2, v2, v26
	v_pack_b32_f16 v4, v56, v6
	v_pack_b32_f16 v7, v51, v7
	v_pack_b32_f16 v6, v50, v13
	v_pack_b32_f16 v9, v33, v17
	ds_store_2addr_b32 v99, v24, v3 offset0:132 offset1:198
	ds_store_2addr_b32 v12, v1, v2 offset0:8 offset1:74
	v_pack_b32_f16 v1, v5, v52
	v_pack_b32_f16 v2, v8, v55
	ds_store_2addr_b32 v12, v4, v7 offset0:140 offset1:206
	ds_store_2addr_b32 v11, v6, v9 offset0:16 offset1:82
	v_pack_b32_f16 v3, v34, v18
	v_pack_b32_f16 v4, v31, v22
	v_add_nc_u32_e32 v5, 0xc00, v144
	v_pack_b32_f16 v6, v14, v58
	v_pack_b32_f16 v7, v29, v19
	;; [unrolled: 1-line block ×3, first 2 shown]
	v_add_nc_u32_e32 v9, 0xc00, v147
	v_pack_b32_f16 v13, v20, v61
	ds_store_2addr_b32 v11, v1, v2 offset0:148 offset1:214
	ds_store_2addr_b32 v5, v3, v4 offset0:24 offset1:156
	ds_store_b32 v144, v6 offset:4224
	ds_store_2addr_b32 v9, v7, v8 offset0:24 offset1:156
	ds_store_b32 v147, v13 offset:4224
	global_wb scope:SCOPE_SE
	s_wait_dscnt 0x0
	s_barrier_signal -1
	s_barrier_wait -1
	global_inv scope:SCOPE_SE
	ds_load_2addr_b32 v[1:2], v99 offset1:66
	ds_load_2addr_b32 v[3:4], v12 offset0:140 offset1:206
	ds_load_2addr_b32 v[5:6], v0 offset0:24 offset1:90
	;; [unrolled: 1-line block ×8, first 2 shown]
	s_wait_dscnt 0x8
	v_lshrrev_b32_e32 v9, 16, v1
	s_wait_dscnt 0x7
	v_lshrrev_b32_e32 v15, 16, v3
	s_wait_dscnt 0x6
	v_lshrrev_b32_e32 v24, 16, v5
	v_lshrrev_b32_e32 v29, 16, v4
	v_lshrrev_b32_e32 v30, 16, v6
	s_wait_dscnt 0x4
	v_lshrrev_b32_e32 v32, 16, v13
	v_mul_f16_e64 v54, v175, v15
	v_mul_f16_e64 v58, v174, v24
	;; [unrolled: 1-line block ×3, first 2 shown]
	s_wait_dscnt 0x3
	v_lshrrev_b32_e32 v33, 16, v17
	v_lshrrev_b32_e32 v48, 16, v14
	v_fmac_f16_e32 v54, v39, v3
	v_mul_f16_e64 v3, v174, v5
	v_fmac_f16_e32 v58, v40, v5
	v_mul_f16_e64 v5, v173, v4
	v_fma_f16 v15, v39, v15, -v56
	v_mul_f16_e64 v39, v173, v29
	v_fma_f16 v3, v40, v24, -v3
	;; [unrolled: 2-line block ×3, first 2 shown]
	v_mul_f16_e64 v29, v171, v32
	v_lshrrev_b32_e32 v49, 16, v18
	v_fmac_f16_e32 v39, v41, v4
	v_mul_f16_e64 v4, v172, v6
	v_fmac_f16_e32 v24, v42, v6
	v_mul_f16_e64 v6, v171, v13
	;; [unrolled: 2-line block ×3, first 2 shown]
	s_wait_dscnt 0x1
	v_lshrrev_b32_e32 v51, 16, v22
	v_fma_f16 v4, v42, v30, -v4
	v_mul_f16_e64 v30, v170, v33
	v_fma_f16 v6, v43, v32, -v6
	v_mul_f16_e64 v32, v169, v48
	;; [unrolled: 2-line block ×3, first 2 shown]
	s_wait_dscnt 0x0
	v_lshrrev_b32_e32 v52, 16, v26
	v_lshrrev_b32_e32 v55, 16, v23
	v_fmac_f16_e32 v30, v44, v17
	v_mul_f16_e64 v17, v169, v14
	v_fmac_f16_e32 v32, v45, v14
	v_mul_f16_e64 v14, v168, v18
	v_mul_f16_e64 v40, v167, v51
	v_fmac_f16_e32 v33, v46, v18
	v_mul_f16_e64 v18, v167, v22
	v_lshrrev_b32_e32 v57, 16, v27
	v_mul_f16_e64 v41, v166, v52
	v_fmac_f16_e32 v40, v37, v22
	v_mul_f16_e64 v22, v166, v26
	v_fma_f16 v18, v37, v51, -v18
	v_mul_f16_e64 v37, v165, v55
	v_fmac_f16_e32 v41, v38, v26
	v_mul_f16_e64 v26, v165, v23
	v_fma_f16 v22, v38, v52, -v22
	;; [unrolled: 4-line block ×3, first 2 shown]
	v_add_f16_e32 v35, v54, v58
	v_fmac_f16_e32 v38, v36, v27
	v_add_f16_e32 v27, v1, v54
	v_fma_f16 v23, v36, v57, -v23
	v_add_f16_e32 v36, v15, v3
	v_fma_f16 v1, -0.5, v35, v1
	v_sub_f16_e32 v35, v15, v3
	v_add_f16_e32 v15, v9, v15
	v_lshrrev_b32_e32 v28, 16, v2
	v_fmac_f16_e32 v9, -0.5, v36
	v_sub_f16_e32 v36, v54, v58
	v_fmamk_f16 v42, v35, 0xbaee, v1
	v_fmac_f16_e32 v1, 0x3aee, v35
	v_add_f16_e32 v3, v15, v3
	v_add_f16_e32 v15, v39, v24
	v_fmamk_f16 v35, v36, 0x3aee, v9
	v_add_f16_e32 v43, v2, v39
	v_fmac_f16_e32 v9, 0xbaee, v36
	v_add_f16_e32 v36, v5, v4
	v_fmac_f16_e32 v2, -0.5, v15
	v_sub_f16_e32 v15, v5, v4
	v_add_f16_e32 v43, v43, v24
	v_add_f16_e32 v5, v28, v5
	v_fmac_f16_e32 v28, -0.5, v36
	v_sub_f16_e32 v24, v39, v24
	v_lshrrev_b32_e32 v31, 16, v7
	v_fmamk_f16 v36, v15, 0xbaee, v2
	v_fmac_f16_e32 v2, 0x3aee, v15
	v_add_f16_e32 v4, v5, v4
	v_add_f16_e32 v5, v29, v30
	v_fmamk_f16 v15, v24, 0x3aee, v28
	v_fmac_f16_e32 v28, 0xbaee, v24
	v_add_f16_e32 v24, v6, v13
	v_fma_f16 v17, v45, v48, -v17
	v_fma_f16 v14, v46, v49, -v14
	v_add_f16_e32 v39, v7, v29
	v_fma_f16 v5, -0.5, v5, v7
	v_sub_f16_e32 v7, v6, v13
	v_add_f16_e32 v6, v31, v6
	v_fmac_f16_e32 v31, -0.5, v24
	v_sub_f16_e32 v24, v29, v30
	v_lshrrev_b32_e32 v34, 16, v8
	v_fmamk_f16 v29, v7, 0xbaee, v5
	v_fmac_f16_e32 v5, 0x3aee, v7
	v_add_f16_e32 v6, v6, v13
	v_add_f16_e32 v7, v32, v33
	v_fmamk_f16 v13, v24, 0x3aee, v31
	v_fmac_f16_e32 v31, 0xbaee, v24
	v_add_f16_e32 v24, v17, v14
	v_add_f16_e32 v39, v39, v30
	;; [unrolled: 1-line block ×3, first 2 shown]
	v_fmac_f16_e32 v8, -0.5, v7
	v_sub_f16_e32 v7, v17, v14
	v_add_f16_e32 v17, v34, v17
	v_fmac_f16_e32 v34, -0.5, v24
	v_sub_f16_e32 v24, v32, v33
	v_lshrrev_b32_e32 v50, 16, v19
	v_fmamk_f16 v32, v7, 0xbaee, v8
	v_fmac_f16_e32 v8, 0x3aee, v7
	v_add_f16_e32 v7, v17, v14
	v_add_f16_e32 v14, v40, v41
	v_fmamk_f16 v17, v24, 0x3aee, v34
	v_fmac_f16_e32 v34, 0xbaee, v24
	v_add_f16_e32 v24, v18, v22
	v_add_f16_e32 v30, v30, v33
	;; [unrolled: 1-line block ×3, first 2 shown]
	v_fma_f16 v14, -0.5, v14, v19
	v_sub_f16_e32 v19, v18, v22
	v_add_f16_e32 v18, v50, v18
	v_fmac_f16_e32 v50, -0.5, v24
	v_sub_f16_e32 v24, v40, v41
	v_lshrrev_b32_e32 v53, 16, v20
	v_add_f16_e32 v27, v27, v58
	v_fmamk_f16 v40, v19, 0xbaee, v14
	v_fmac_f16_e32 v14, 0x3aee, v19
	v_add_f16_e32 v18, v18, v22
	v_add_f16_e32 v19, v37, v38
	v_fmamk_f16 v22, v24, 0x3aee, v50
	v_fmac_f16_e32 v50, 0xbaee, v24
	v_add_f16_e32 v24, v26, v23
	v_add_f16_e32 v33, v33, v41
	;; [unrolled: 1-line block ×3, first 2 shown]
	v_fmac_f16_e32 v20, -0.5, v19
	v_sub_f16_e32 v19, v26, v23
	v_add_f16_e32 v26, v53, v26
	v_fmac_f16_e32 v53, -0.5, v24
	v_sub_f16_e32 v24, v37, v38
	v_pack_b32_f16 v3, v27, v3
	v_pack_b32_f16 v4, v43, v4
	v_add_f16_e32 v37, v41, v38
	v_fmamk_f16 v38, v19, 0xbaee, v20
	v_fmac_f16_e32 v20, 0x3aee, v19
	v_add_f16_e32 v19, v26, v23
	v_fmamk_f16 v23, v24, 0x3aee, v53
	v_fmac_f16_e32 v53, 0xbaee, v24
	v_pack_b32_f16 v24, v42, v35
	v_pack_b32_f16 v1, v1, v9
	;; [unrolled: 1-line block ×3, first 2 shown]
	ds_store_2addr_b32 v99, v3, v4 offset1:66
	v_pack_b32_f16 v3, v39, v6
	v_pack_b32_f16 v4, v30, v7
	;; [unrolled: 1-line block ×3, first 2 shown]
	ds_store_2addr_b32 v12, v24, v9 offset0:140 offset1:206
	ds_store_2addr_b32 v0, v1, v2 offset0:24 offset1:90
	v_pack_b32_f16 v1, v29, v13
	ds_store_2addr_b32 v99, v3, v4 offset0:132 offset1:198
	v_pack_b32_f16 v3, v33, v18
	v_pack_b32_f16 v4, v37, v19
	v_pack_b32_f16 v2, v5, v31
	v_pack_b32_f16 v5, v32, v17
	v_pack_b32_f16 v6, v8, v34
	v_pack_b32_f16 v7, v40, v22
	v_pack_b32_f16 v8, v14, v50
	ds_store_2addr_b32 v12, v3, v4 offset0:8 offset1:74
	v_pack_b32_f16 v3, v38, v23
	v_pack_b32_f16 v4, v20, v53
	ds_store_b32 v176, v1 offset:1584
	ds_store_b32 v176, v2 offset:3168
	;; [unrolled: 1-line block ×8, first 2 shown]
	global_wb scope:SCOPE_SE
	s_wait_dscnt 0x0
	s_barrier_signal -1
	s_barrier_wait -1
	global_inv scope:SCOPE_SE
	ds_load_2addr_b32 v[6:7], v99 offset1:66
	v_mad_co_u64_u32 v[19:20], null, s6, v16, 0
	v_lshrrev_b32_e32 v31, 16, v87
	v_lshrrev_b32_e32 v32, 16, v83
	s_wait_dscnt 0x0
	v_lshrrev_b32_e32 v3, 16, v6
	v_mul_f16_e32 v4, v101, v6
	s_delay_alu instid0(VALU_DEP_2) | instskip(NEXT) | instid1(VALU_DEP_2)
	v_mul_f16_e32 v1, v101, v3
	v_fma_f16 v3, v96, v3, -v4
	ds_load_2addr_b32 v[4:5], v99 offset0:132 offset1:198
	v_fmac_f16_e32 v1, v96, v6
	v_cvt_f32_f16_e32 v3, v3
	s_delay_alu instid0(VALU_DEP_2) | instskip(NEXT) | instid1(VALU_DEP_2)
	v_cvt_f32_f16_e32 v1, v1
	v_cvt_f64_f32_e32 v[8:9], v3
	s_delay_alu instid0(VALU_DEP_2) | instskip(SKIP_2) | instid1(VALU_DEP_1)
	v_cvt_f64_f32_e32 v[1:2], v1
	s_wait_dscnt 0x0
	v_lshrrev_b32_e32 v3, 16, v5
	v_mul_f16_e32 v6, v100, v3
	s_delay_alu instid0(VALU_DEP_1) | instskip(SKIP_1) | instid1(VALU_DEP_2)
	v_fmac_f16_e32 v6, v97, v5
	v_mul_f16_e32 v5, v100, v5
	v_cvt_f32_f16_e32 v6, v6
	s_delay_alu instid0(VALU_DEP_2) | instskip(NEXT) | instid1(VALU_DEP_1)
	v_fma_f16 v3, v97, v3, -v5
	v_cvt_f32_f16_e32 v3, v3
	s_wait_alu 0xfffe
	v_mul_f64_e32 v[8:9], s[8:9], v[8:9]
	v_mul_f64_e32 v[1:2], s[8:9], v[1:2]
	s_delay_alu instid0(VALU_DEP_2) | instskip(SKIP_2) | instid1(VALU_DEP_4)
	v_and_or_b32 v8, 0x1ff, v9, v8
	v_lshrrev_b32_e32 v18, 8, v9
	v_bfe_u32 v22, v9, 20, 11
	v_and_or_b32 v1, 0x1ff, v2, v1
	v_lshrrev_b32_e32 v13, 8, v2
	v_bfe_u32 v15, v2, 20, 11
	s_delay_alu instid0(VALU_DEP_4) | instskip(NEXT) | instid1(VALU_DEP_4)
	v_add_nc_u32_e32 v26, 0xfffffc10, v22
	v_cmp_ne_u32_e32 vcc_lo, 0, v1
	s_delay_alu instid0(VALU_DEP_3) | instskip(SKIP_3) | instid1(VALU_DEP_2)
	v_add_nc_u32_e32 v23, 0xfffffc10, v15
	s_wait_alu 0xfffd
	v_cndmask_b32_e64 v1, 0, 1, vcc_lo
	v_cmp_ne_u32_e32 vcc_lo, 0, v8
	v_and_or_b32 v21, 0xffe, v13, v1
	v_sub_nc_u32_e32 v1, 0x3f1, v15
	v_cvt_f64_f32_e32 v[13:14], v6
	s_wait_alu 0xfffd
	v_cndmask_b32_e64 v8, 0, 1, vcc_lo
	v_or_b32_e32 v6, 0x1000, v21
	v_med3_i32 v1, v1, 0, 13
	v_lshl_or_b32 v5, v23, 12, v21
	s_delay_alu instid0(VALU_DEP_4) | instskip(NEXT) | instid1(VALU_DEP_3)
	v_and_or_b32 v8, 0xffe, v18, v8
	v_lshrrev_b32_e32 v17, v1, v6
	s_delay_alu instid0(VALU_DEP_2) | instskip(NEXT) | instid1(VALU_DEP_2)
	v_or_b32_e32 v15, 0x1000, v8
	v_lshlrev_b32_e32 v1, v1, v17
	s_delay_alu instid0(VALU_DEP_1) | instskip(SKIP_3) | instid1(VALU_DEP_2)
	v_cmp_ne_u32_e32 vcc_lo, v1, v6
	v_sub_nc_u32_e32 v6, 0x3f1, v22
	s_wait_alu 0xfffd
	v_cndmask_b32_e64 v1, 0, 1, vcc_lo
	v_med3_i32 v6, v6, 0, 13
	v_cmp_gt_i32_e32 vcc_lo, 1, v23
	s_delay_alu instid0(VALU_DEP_3) | instskip(NEXT) | instid1(VALU_DEP_3)
	v_or_b32_e32 v1, v17, v1
	v_lshrrev_b32_e32 v25, v6, v15
	v_cvt_f64_f32_e32 v[17:18], v3
	s_wait_alu 0xfffd
	s_delay_alu instid0(VALU_DEP_3) | instskip(NEXT) | instid1(VALU_DEP_3)
	v_cndmask_b32_e32 v24, v5, v1, vcc_lo
	v_lshlrev_b32_e32 v3, v6, v25
	v_mul_f64_e32 v[13:14], s[8:9], v[13:14]
	s_delay_alu instid0(VALU_DEP_3) | instskip(NEXT) | instid1(VALU_DEP_3)
	v_and_b32_e32 v1, 7, v24
	v_cmp_ne_u32_e64 s0, v3, v15
	v_lshrrev_b32_e32 v15, 2, v24
	s_delay_alu instid0(VALU_DEP_3) | instskip(SKIP_1) | instid1(VALU_DEP_3)
	v_cmp_lt_i32_e32 vcc_lo, 5, v1
	s_wait_alu 0xf1ff
	v_cndmask_b32_e64 v3, 0, 1, s0
	v_cmp_eq_u32_e64 s0, 3, v1
	v_mov_b32_e32 v1, v20
	v_lshl_or_b32 v20, v26, 12, v8
	s_delay_alu instid0(VALU_DEP_4) | instskip(NEXT) | instid1(VALU_DEP_4)
	v_or_b32_e32 v3, v25, v3
	s_or_b32 vcc_lo, s0, vcc_lo
	v_lshrrev_b32_e32 v25, 16, v2
	s_wait_alu 0xfffe
	v_add_co_ci_u32_e32 v15, vcc_lo, 0, v15, vcc_lo
	v_cmp_ne_u32_e32 vcc_lo, 0, v21
	s_wait_alu 0xfffd
	v_cndmask_b32_e64 v21, 0, 1, vcc_lo
	v_cmp_gt_i32_e32 vcc_lo, 1, v26
	s_delay_alu instid0(VALU_DEP_2)
	v_lshl_or_b32 v21, v21, 9, 0x7c00
	s_wait_alu 0xfffd
	v_cndmask_b32_e32 v3, v20, v3, vcc_lo
	v_cmp_gt_i32_e32 vcc_lo, 31, v23
	s_wait_alu 0xfffd
	v_cndmask_b32_e32 v20, 0x7c00, v15, vcc_lo
	v_cmp_eq_u32_e32 vcc_lo, 0x40f, v23
	v_mad_co_u64_u32 v[15:16], null, s7, v16, v[1:2]
	v_and_b32_e32 v1, 7, v3
	v_mul_f64_e32 v[16:17], s[8:9], v[17:18]
	s_wait_alu 0xfffd
	v_cndmask_b32_e32 v23, v20, v21, vcc_lo
	ds_load_2addr_b32 v[5:6], v12 offset0:140 offset1:206
	v_lshrrev_b32_e32 v18, 8, v14
	v_cmp_lt_i32_e32 vcc_lo, 5, v1
	v_cmp_eq_u32_e64 s0, 3, v1
	v_lshrrev_b32_e32 v1, 2, v3
	v_and_or_b32 v3, 0x1ff, v14, v13
	v_bfe_u32 v27, v14, 20, 11
	v_mad_co_u64_u32 v[21:22], null, s4, v91, 0
	s_or_b32 vcc_lo, s0, vcc_lo
	v_mov_b32_e32 v20, v15
	s_wait_alu 0xfffe
	v_add_co_ci_u32_e32 v13, vcc_lo, 0, v1, vcc_lo
	v_cmp_ne_u32_e32 vcc_lo, 0, v8
	s_wait_alu 0xfffd
	v_cndmask_b32_e64 v8, 0, 1, vcc_lo
	v_cmp_ne_u32_e32 vcc_lo, 0, v3
	s_wait_dscnt 0x0
	v_lshrrev_b32_e32 v24, 16, v5
	s_delay_alu instid0(VALU_DEP_3) | instskip(SKIP_2) | instid1(VALU_DEP_3)
	v_lshl_or_b32 v8, v8, 9, 0x7c00
	s_wait_alu 0xfffd
	v_cndmask_b32_e64 v3, 0, 1, vcc_lo
	v_mul_f16_e32 v2, v98, v24
	v_cmp_gt_i32_e32 vcc_lo, 31, v26
	s_delay_alu instid0(VALU_DEP_3) | instskip(NEXT) | instid1(VALU_DEP_3)
	v_and_or_b32 v28, 0xffe, v18, v3
	v_fmac_f16_e32 v2, v94, v5
	v_sub_nc_u32_e32 v3, 0x3f1, v27
	s_wait_alu 0xfffd
	v_cndmask_b32_e32 v13, 0x7c00, v13, vcc_lo
	v_cmp_eq_u32_e32 vcc_lo, 0x40f, v26
	v_or_b32_e32 v18, 0x1000, v28
	v_cvt_f32_f16_e32 v1, v2
	v_med3_i32 v29, v3, 0, 13
	v_mov_b32_e32 v3, v22
	s_wait_alu 0xfffd
	v_cndmask_b32_e32 v13, v13, v8, vcc_lo
	v_lshrrev_b32_e32 v22, 16, v9
	v_cvt_f64_f32_e32 v[1:2], v1
	v_lshrrev_b32_e32 v26, v29, v18
	v_mad_co_u64_u32 v[8:9], null, s5, v91, v[3:4]
	v_mul_f16_e32 v5, v98, v5
	v_and_or_b32 v3, 0x8000, v25, v23
	s_delay_alu instid0(VALU_DEP_4)
	v_lshlrev_b32_e32 v9, v29, v26
	v_and_or_b32 v13, 0x8000, v22, v13
	v_add_nc_u32_e32 v23, 0xfffffc10, v27
	v_fma_f16 v5, v94, v24, -v5
	v_mov_b32_e32 v22, v8
	v_cmp_ne_u32_e32 vcc_lo, v9, v18
	v_and_or_b32 v9, 0x1ff, v17, v16
	v_lshl_or_b32 v24, v23, 12, v28
	v_cvt_f32_f16_e32 v5, v5
	v_bfe_u32 v27, v17, 20, 11
	s_wait_alu 0xfffd
	v_cndmask_b32_e64 v8, 0, 1, vcc_lo
	v_cmp_ne_u32_e32 vcc_lo, 0, v9
	v_and_b32_e32 v3, 0xffff, v3
	s_delay_alu instid0(VALU_DEP_3)
	v_or_b32_e32 v18, v26, v8
	s_wait_alu 0xfffd
	v_cndmask_b32_e64 v25, 0, 1, vcc_lo
	v_lshrrev_b32_e32 v26, 8, v17
	v_cmp_gt_i32_e32 vcc_lo, 1, v23
	v_cvt_f64_f32_e32 v[8:9], v5
	s_wait_alu 0xfffd
	v_cndmask_b32_e32 v5, v24, v18, vcc_lo
	v_and_or_b32 v24, 0xffe, v26, v25
	v_sub_nc_u32_e32 v18, 0x3f1, v27
	v_lshl_or_b32 v25, v13, 16, v3
	s_delay_alu instid0(VALU_DEP_3)
	v_or_b32_e32 v13, 0x1000, v24
	v_mul_f64_e32 v[15:16], s[8:9], v[1:2]
	v_lshlrev_b64_e32 v[1:2], 2, v[19:20]
	v_med3_i32 v20, v18, 0, 13
	v_lshlrev_b64_e32 v[18:19], 2, v[21:22]
	v_add_nc_u32_e32 v22, 0xfffffc10, v27
	v_and_b32_e32 v3, 7, v5
	v_lshrrev_b32_e32 v5, 2, v5
	v_add_co_u32 v1, vcc_lo, s2, v1
	v_lshrrev_b32_e32 v29, v20, v13
	s_wait_alu 0xfffd
	v_add_co_ci_u32_e32 v26, vcc_lo, s3, v2, vcc_lo
	v_cmp_lt_i32_e32 vcc_lo, 5, v3
	v_cmp_eq_u32_e64 s0, 3, v3
	v_lshlrev_b32_e32 v20, v20, v29
	ds_load_2addr_b32 v[2:3], v11 offset0:16 offset1:82
	s_mul_u64 s[2:3], s[4:5], 0x318
	s_or_b32 vcc_lo, s0, vcc_lo
	s_wait_alu 0xfffe
	v_add_co_ci_u32_e32 v5, vcc_lo, 0, v5, vcc_lo
	v_cmp_ne_u32_e32 vcc_lo, v20, v13
	v_mul_f64_e32 v[20:21], s[8:9], v[8:9]
	s_wait_alu 0xfffd
	v_cndmask_b32_e64 v13, 0, 1, vcc_lo
	v_add_co_u32 v18, vcc_lo, v1, v18
	s_wait_alu 0xfffd
	v_add_co_ci_u32_e32 v19, vcc_lo, v26, v19, vcc_lo
	v_cmp_gt_i32_e32 vcc_lo, 31, v23
	s_wait_dscnt 0x0
	v_lshrrev_b32_e32 v8, 16, v3
	global_store_b32 v[18:19], v25, off
	s_wait_alu 0xfffd
	v_cndmask_b32_e32 v1, 0x7c00, v5, vcc_lo
	v_cmp_ne_u32_e32 vcc_lo, 0, v28
	v_or_b32_e32 v5, v29, v13
	v_lshl_or_b32 v13, v22, 12, v24
	v_and_or_b32 v15, 0x1ff, v16, v15
	v_mul_f16_e32 v27, v95, v8
	s_wait_alu 0xfffd
	v_cndmask_b32_e64 v26, 0, 1, vcc_lo
	v_cmp_gt_i32_e32 vcc_lo, 1, v22
	s_delay_alu instid0(VALU_DEP_3) | instskip(NEXT) | instid1(VALU_DEP_3)
	v_fmac_f16_e32 v27, v92, v3
	v_lshl_or_b32 v26, v26, 9, 0x7c00
	s_wait_alu 0xfffd
	v_cndmask_b32_e32 v5, v13, v5, vcc_lo
	v_cmp_ne_u32_e32 vcc_lo, 0, v15
	v_lshrrev_b32_e32 v13, 8, v16
	v_bfe_u32 v15, v16, 20, 11
	v_mul_f16_e32 v3, v95, v3
	v_and_b32_e32 v28, 7, v5
	s_wait_alu 0xfffd
	v_cndmask_b32_e64 v9, 0, 1, vcc_lo
	v_cmp_eq_u32_e32 vcc_lo, 0x40f, v23
	v_lshrrev_b32_e32 v5, 2, v5
	v_fma_f16 v3, v92, v8, -v3
	v_cmp_eq_u32_e64 s0, 3, v28
	v_and_or_b32 v29, 0xffe, v13, v9
	v_sub_nc_u32_e32 v9, 0x3f1, v15
	s_wait_alu 0xfffd
	v_cndmask_b32_e32 v1, v1, v26, vcc_lo
	v_cmp_lt_i32_e32 vcc_lo, 5, v28
	v_cvt_f32_f16_e32 v13, v27
	v_or_b32_e32 v23, 0x1000, v29
	v_med3_i32 v9, v9, 0, 13
	v_lshrrev_b32_e32 v26, 16, v14
	s_or_b32 vcc_lo, s0, vcc_lo
	v_cvt_f64_f32_e32 v[13:14], v13
	s_wait_alu 0xfffe
	v_add_co_ci_u32_e32 v5, vcc_lo, 0, v5, vcc_lo
	v_lshrrev_b32_e32 v27, v9, v23
	v_cmp_ne_u32_e32 vcc_lo, 0, v24
	v_and_or_b32 v8, 0x1ff, v21, v20
	v_add_nc_u32_e32 v15, 0xfffffc10, v15
	v_cvt_f32_f16_e32 v3, v3
	v_lshlrev_b32_e32 v9, v9, v27
	s_wait_alu 0xfffd
	v_cndmask_b32_e64 v24, 0, 1, vcc_lo
	v_cmp_gt_i32_e32 vcc_lo, 31, v22
	v_lshl_or_b32 v20, v15, 12, v29
	v_and_or_b32 v1, 0x8000, v26, v1
	v_lshrrev_b32_e32 v28, 16, v89
	v_lshl_or_b32 v24, v24, 9, 0x7c00
	s_wait_alu 0xfffd
	v_cndmask_b32_e32 v5, 0x7c00, v5, vcc_lo
	v_cmp_ne_u32_e32 vcc_lo, v9, v23
	v_and_b32_e32 v1, 0xffff, v1
	s_wait_alu 0xfffd
	v_cndmask_b32_e64 v9, 0, 1, vcc_lo
	v_cmp_eq_u32_e32 vcc_lo, 0x40f, v22
	v_cvt_f64_f32_e32 v[22:23], v3
	v_lshrrev_b32_e32 v3, 16, v17
	v_bfe_u32 v17, v21, 20, 11
	v_or_b32_e32 v9, v27, v9
	s_wait_alu 0xfffd
	v_cndmask_b32_e32 v5, v5, v24, vcc_lo
	v_cmp_ne_u32_e32 vcc_lo, 0, v8
	v_lshrrev_b32_e32 v24, 8, v21
	v_sub_nc_u32_e32 v26, 0x3f1, v17
	v_lshrrev_b32_e32 v21, 16, v21
	v_and_or_b32 v3, 0x8000, v3, v5
	s_wait_alu 0xfffd
	v_cndmask_b32_e64 v8, 0, 1, vcc_lo
	v_cmp_gt_i32_e32 vcc_lo, 1, v15
	v_med3_i32 v26, v26, 0, 13
	v_lshl_or_b32 v1, v3, 16, v1
	s_delay_alu instid0(VALU_DEP_4)
	v_and_or_b32 v24, 0xffe, v24, v8
	s_wait_alu 0xfffd
	v_cndmask_b32_e32 v20, v20, v9, vcc_lo
	ds_load_2addr_b32 v[8:9], v0 offset0:24 offset1:90
	v_mul_f64_e32 v[13:14], s[8:9], v[13:14]
	v_or_b32_e32 v27, 0x1000, v24
	v_and_b32_e32 v5, 7, v20
	v_lshrrev_b32_e32 v3, 2, v20
	s_delay_alu instid0(VALU_DEP_3) | instskip(NEXT) | instid1(VALU_DEP_3)
	v_lshrrev_b32_e32 v25, v26, v27
	v_cmp_lt_i32_e32 vcc_lo, 5, v5
	v_cmp_eq_u32_e64 s0, 3, v5
	s_delay_alu instid0(VALU_DEP_3) | instskip(NEXT) | instid1(VALU_DEP_2)
	v_lshlrev_b32_e32 v5, v26, v25
	s_or_b32 vcc_lo, s0, vcc_lo
	s_wait_alu 0xfffe
	v_add_co_ci_u32_e32 v3, vcc_lo, 0, v3, vcc_lo
	v_cmp_ne_u32_e32 vcc_lo, 0, v29
	v_mul_f64_e32 v[22:23], s[8:9], v[22:23]
	s_wait_alu 0xfffd
	v_cndmask_b32_e64 v20, 0, 1, vcc_lo
	v_cmp_ne_u32_e32 vcc_lo, v5, v27
	s_wait_dscnt 0x0
	v_lshrrev_b32_e32 v27, 16, v8
	s_delay_alu instid0(VALU_DEP_3) | instskip(SKIP_3) | instid1(VALU_DEP_2)
	v_lshl_or_b32 v20, v20, 9, 0x7c00
	s_wait_alu 0xfffd
	v_cndmask_b32_e64 v5, 0, 1, vcc_lo
	v_cmp_gt_i32_e32 vcc_lo, 31, v15
	v_or_b32_e32 v5, v25, v5
	s_wait_alu 0xfffd
	v_cndmask_b32_e32 v3, 0x7c00, v3, vcc_lo
	v_add_nc_u32_e32 v26, 0xfffffc10, v17
	v_mul_f16_e32 v25, v28, v27
	v_and_or_b32 v13, 0x1ff, v14, v13
	s_delay_alu instid0(VALU_DEP_3) | instskip(SKIP_1) | instid1(VALU_DEP_4)
	v_lshl_or_b32 v17, v26, 12, v24
	v_cmp_gt_i32_e32 vcc_lo, 1, v26
	v_fmac_f16_e32 v25, v89, v8
	s_delay_alu instid0(VALU_DEP_4)
	v_cmp_ne_u32_e64 s1, 0, v13
	v_mul_f16_e32 v8, v28, v8
	s_wait_alu 0xfffd
	v_cndmask_b32_e32 v5, v17, v5, vcc_lo
	v_cmp_eq_u32_e32 vcc_lo, 0x40f, v15
	v_lshrrev_b32_e32 v17, 16, v16
	v_cvt_f32_f16_e32 v25, v25
	s_wait_alu 0xf1ff
	v_cndmask_b32_e64 v13, 0, 1, s1
	v_fma_f16 v8, v89, v27, -v8
	s_wait_alu 0xfffd
	v_dual_cndmask_b32 v3, v3, v20 :: v_dual_and_b32 v20, 7, v5
	v_add_co_u32 v15, vcc_lo, v18, s2
	s_wait_alu 0xfffd
	v_add_co_ci_u32_e32 v16, vcc_lo, s3, v19, vcc_lo
	s_delay_alu instid0(VALU_DEP_3)
	v_and_or_b32 v3, 0x8000, v17, v3
	v_cvt_f64_f32_e32 v[17:18], v25
	v_cmp_lt_i32_e32 vcc_lo, 5, v20
	v_cmp_eq_u32_e64 s0, 3, v20
	v_lshrrev_b32_e32 v5, 2, v5
	v_lshrrev_b32_e32 v19, 8, v14
	v_bfe_u32 v25, v14, 20, 11
	v_cvt_f32_f16_e32 v8, v8
	s_or_b32 vcc_lo, s0, vcc_lo
	v_and_or_b32 v22, 0x1ff, v23, v22
	s_wait_alu 0xfffe
	v_add_co_ci_u32_e32 v5, vcc_lo, 0, v5, vcc_lo
	v_and_or_b32 v13, 0xffe, v19, v13
	v_sub_nc_u32_e32 v19, 0x3f1, v25
	v_cmp_ne_u32_e32 vcc_lo, 0, v24
	v_and_b32_e32 v3, 0xffff, v3
	global_store_b32 v[15:16], v1, off
	v_or_b32_e32 v24, 0x1000, v13
	v_med3_i32 v27, v19, 0, 13
	s_wait_alu 0xfffd
	v_cndmask_b32_e64 v20, 0, 1, vcc_lo
	v_cmp_gt_i32_e32 vcc_lo, 31, v26
	ds_load_2addr_b32 v[0:1], v0 offset0:156 offset1:222
	v_lshrrev_b32_e32 v29, v27, v24
	v_lshl_or_b32 v28, v20, 9, 0x7c00
	s_wait_alu 0xfffd
	v_cndmask_b32_e32 v5, 0x7c00, v5, vcc_lo
	v_cmp_eq_u32_e32 vcc_lo, 0x40f, v26
	v_cvt_f64_f32_e32 v[19:20], v8
	v_lshlrev_b32_e32 v8, v27, v29
	v_lshrrev_b32_e32 v26, 8, v23
	v_bfe_u32 v27, v23, 20, 11
	s_wait_alu 0xfffd
	v_cndmask_b32_e32 v5, v5, v28, vcc_lo
	v_cmp_ne_u32_e32 vcc_lo, 0, v22
	v_lshrrev_b32_e32 v23, 16, v23
	s_delay_alu instid0(VALU_DEP_3)
	v_and_or_b32 v5, 0x8000, v21, v5
	s_wait_alu 0xfffd
	v_cndmask_b32_e64 v22, 0, 1, vcc_lo
	v_cmp_ne_u32_e32 vcc_lo, v8, v24
	v_add_nc_u32_e32 v24, 0xfffffc10, v25
	v_mul_f64_e32 v[17:18], s[8:9], v[17:18]
	v_lshl_or_b32 v3, v5, 16, v3
	v_and_or_b32 v25, 0xffe, v26, v22
	s_wait_alu 0xfffd
	v_cndmask_b32_e64 v8, 0, 1, vcc_lo
	v_sub_nc_u32_e32 v22, 0x3f1, v27
	v_lshl_or_b32 v26, v24, 12, v13
	v_cmp_gt_i32_e32 vcc_lo, 1, v24
	v_or_b32_e32 v28, 0x1000, v25
	v_or_b32_e32 v8, v29, v8
	v_med3_i32 v22, v22, 0, 13
	s_wait_alu 0xfffd
	s_delay_alu instid0(VALU_DEP_2) | instskip(NEXT) | instid1(VALU_DEP_2)
	v_cndmask_b32_e32 v8, v26, v8, vcc_lo
	v_lshrrev_b32_e32 v21, v22, v28
	v_add_co_u32 v15, vcc_lo, v15, s2
	s_wait_alu 0xfffd
	v_add_co_ci_u32_e32 v16, vcc_lo, s3, v16, vcc_lo
	v_and_b32_e32 v5, 7, v8
	v_lshlrev_b32_e32 v22, v22, v21
	v_add_nc_u32_e32 v26, 0xfffffc10, v27
	s_wait_dscnt 0x0
	v_lshrrev_b32_e32 v27, 16, v1
	global_store_b32 v[15:16], v3, off
	v_cmp_lt_i32_e32 vcc_lo, 5, v5
	v_cmp_eq_u32_e64 s0, 3, v5
	v_lshrrev_b32_e32 v5, 2, v8
	v_cmp_ne_u32_e64 s1, v22, v28
	v_mul_f64_e32 v[19:20], s[8:9], v[19:20]
	s_delay_alu instid0(VALU_DEP_4)
	s_or_b32 vcc_lo, s0, vcc_lo
	s_wait_alu 0xfffe
	v_add_co_ci_u32_e32 v5, vcc_lo, 0, v5, vcc_lo
	v_cndmask_b32_e64 v8, 0, 1, s1
	v_cmp_ne_u32_e32 vcc_lo, 0, v13
	v_and_or_b32 v17, 0x1ff, v18, v17
	s_delay_alu instid0(VALU_DEP_3)
	v_or_b32_e32 v8, v21, v8
	v_lshl_or_b32 v21, v26, 12, v25
	s_wait_alu 0xfffd
	v_cndmask_b32_e64 v13, 0, 1, vcc_lo
	v_cmp_gt_i32_e32 vcc_lo, 1, v26
	v_lshrrev_b32_e32 v29, 8, v18
	v_bfe_u32 v30, v18, 20, 11
	s_delay_alu instid0(VALU_DEP_4)
	v_lshl_or_b32 v13, v13, 9, 0x7c00
	s_wait_alu 0xfffd
	v_cndmask_b32_e32 v8, v21, v8, vcc_lo
	v_cmp_gt_i32_e32 vcc_lo, 31, v24
	v_mul_f16_e32 v21, v31, v27
	s_wait_alu 0xfffd
	s_delay_alu instid0(VALU_DEP_3) | instskip(SKIP_1) | instid1(VALU_DEP_3)
	v_dual_cndmask_b32 v5, 0x7c00, v5 :: v_dual_and_b32 v28, 7, v8
	v_cmp_ne_u32_e32 vcc_lo, 0, v17
	v_fmac_f16_e32 v21, v87, v1
	v_lshrrev_b32_e32 v8, 2, v8
	s_delay_alu instid0(VALU_DEP_4)
	v_cmp_eq_u32_e64 s0, 3, v28
	v_mul_f16_e32 v1, v31, v1
	s_wait_alu 0xfffd
	v_cndmask_b32_e64 v17, 0, 1, vcc_lo
	v_cmp_eq_u32_e32 vcc_lo, 0x40f, v24
	v_cvt_f32_f16_e32 v21, v21
	v_lshrrev_b32_e32 v24, 16, v14
	v_fma_f16 v1, v87, v27, -v1
	v_and_or_b32 v17, 0xffe, v29, v17
	s_wait_alu 0xfffd
	v_cndmask_b32_e32 v5, v5, v13, vcc_lo
	v_sub_nc_u32_e32 v13, 0x3f1, v30
	v_cmp_lt_i32_e32 vcc_lo, 5, v28
	v_cvt_f64_f32_e32 v[21:22], v21
	v_or_b32_e32 v14, 0x1000, v17
	v_and_or_b32 v19, 0x1ff, v20, v19
	v_med3_i32 v13, v13, 0, 13
	s_or_b32 vcc_lo, s0, vcc_lo
	v_lshrrev_b32_e32 v27, 8, v20
	s_wait_alu 0xfffe
	v_add_co_ci_u32_e32 v8, vcc_lo, 0, v8, vcc_lo
	v_lshrrev_b32_e32 v28, v13, v14
	v_cmp_gt_i32_e32 vcc_lo, 31, v26
	v_cvt_f32_f16_e32 v1, v1
	v_bfe_u32 v29, v20, 20, 11
	v_add_nc_u32_e32 v30, 0xfffffc10, v30
	v_lshlrev_b32_e32 v13, v13, v28
	s_wait_alu 0xfffd
	v_cndmask_b32_e32 v8, 0x7c00, v8, vcc_lo
	v_cmp_ne_u32_e32 vcc_lo, 0, v19
	v_and_or_b32 v3, 0x8000, v24, v5
	s_wait_alu 0xfffd
	v_cndmask_b32_e64 v19, 0, 1, vcc_lo
	v_cmp_ne_u32_e32 vcc_lo, v13, v14
	v_cvt_f64_f32_e32 v[13:14], v1
	v_and_b32_e32 v3, 0xffff, v3
	s_delay_alu instid0(VALU_DEP_4) | instskip(SKIP_4) | instid1(VALU_DEP_3)
	v_and_or_b32 v1, 0xffe, v27, v19
	s_wait_alu 0xfffd
	v_cndmask_b32_e64 v31, 0, 1, vcc_lo
	v_sub_nc_u32_e32 v19, 0x3f1, v29
	v_cmp_ne_u32_e32 vcc_lo, 0, v25
	v_or_b32_e32 v27, v28, v31
	v_lshl_or_b32 v28, v30, 12, v17
	s_wait_alu 0xfffd
	v_cndmask_b32_e64 v25, 0, 1, vcc_lo
	v_or_b32_e32 v31, 0x1000, v1
	v_med3_i32 v19, v19, 0, 13
	v_cmp_gt_i32_e32 vcc_lo, 1, v30
	s_delay_alu instid0(VALU_DEP_4)
	v_lshl_or_b32 v25, v25, 9, 0x7c00
	v_mul_f64_e32 v[21:22], s[8:9], v[21:22]
	s_wait_alu 0xfffd
	v_cndmask_b32_e32 v27, v28, v27, vcc_lo
	v_lshrrev_b32_e32 v28, v19, v31
	v_cmp_eq_u32_e32 vcc_lo, 0x40f, v26
	v_lshrrev_b32_e32 v26, 16, v18
	s_wait_alu 0xfffd
	s_delay_alu instid0(VALU_DEP_3) | instskip(SKIP_1) | instid1(VALU_DEP_2)
	v_dual_cndmask_b32 v8, v8, v25 :: v_dual_lshlrev_b32 v19, v19, v28
	v_and_b32_e32 v25, 7, v27
	v_cmp_ne_u32_e64 s0, v19, v31
	s_delay_alu instid0(VALU_DEP_3) | instskip(NEXT) | instid1(VALU_DEP_3)
	v_and_or_b32 v5, 0x8000, v23, v8
	v_cmp_lt_i32_e32 vcc_lo, 5, v25
	v_lshrrev_b32_e32 v23, 2, v27
	v_add_nc_u32_e32 v19, 0xfffffc10, v29
	s_wait_alu 0xf1ff
	v_cndmask_b32_e64 v8, 0, 1, s0
	v_cmp_eq_u32_e64 s0, 3, v25
	v_lshl_or_b32 v3, v5, 16, v3
	v_mul_f64_e32 v[13:14], s[8:9], v[13:14]
	v_lshl_or_b32 v24, v19, 12, v1
	v_or_b32_e32 v8, v28, v8
	s_or_b32 vcc_lo, s0, vcc_lo
	v_lshrrev_b32_e32 v28, 16, v84
	s_wait_alu 0xfffe
	v_add_co_ci_u32_e32 v23, vcc_lo, 0, v23, vcc_lo
	v_cmp_ne_u32_e32 vcc_lo, 0, v17
	s_wait_alu 0xfffd
	v_cndmask_b32_e64 v17, 0, 1, vcc_lo
	v_cmp_gt_i32_e32 vcc_lo, 1, v19
	s_delay_alu instid0(VALU_DEP_2)
	v_lshl_or_b32 v17, v17, 9, 0x7c00
	s_wait_alu 0xfffd
	v_cndmask_b32_e32 v8, v24, v8, vcc_lo
	v_lshrrev_b32_e32 v24, 16, v7
	v_cmp_gt_i32_e32 vcc_lo, 31, v30
	v_bfe_u32 v27, v22, 20, 11
	s_delay_alu instid0(VALU_DEP_4) | instskip(NEXT) | instid1(VALU_DEP_4)
	v_and_b32_e32 v25, 7, v8
	v_mul_f16_e32 v5, v28, v24
	s_wait_alu 0xfffd
	v_cndmask_b32_e32 v23, 0x7c00, v23, vcc_lo
	v_cmp_eq_u32_e32 vcc_lo, 0x40f, v30
	v_lshrrev_b32_e32 v8, 2, v8
	v_cmp_eq_u32_e64 s0, 3, v25
	v_fmac_f16_e32 v5, v84, v7
	v_mul_f16_e32 v7, v28, v7
	s_wait_alu 0xfffd
	v_cndmask_b32_e32 v23, v23, v17, vcc_lo
	v_and_or_b32 v17, 0x1ff, v22, v21
	v_cmp_lt_i32_e32 vcc_lo, 5, v25
	v_cvt_f32_f16_e32 v5, v5
	v_lshrrev_b32_e32 v25, 8, v22
	v_fma_f16 v7, v84, v24, -v7
	v_cmp_ne_u32_e64 s1, 0, v17
	s_or_b32 vcc_lo, s0, vcc_lo
	v_cvt_f64_f32_e32 v[17:18], v5
	s_wait_alu 0xfffe
	v_add_co_ci_u32_e32 v5, vcc_lo, 0, v8, vcc_lo
	v_cndmask_b32_e64 v21, 0, 1, s1
	v_cmp_ne_u32_e32 vcc_lo, 0, v1
	v_sub_nc_u32_e32 v8, 0x3f1, v27
	v_and_or_b32 v13, 0x1ff, v14, v13
	v_cvt_f32_f16_e32 v7, v7
	v_and_or_b32 v21, 0xffe, v25, v21
	s_wait_alu 0xfffd
	v_cndmask_b32_e64 v1, 0, 1, vcc_lo
	v_cmp_gt_i32_e32 vcc_lo, 31, v19
	v_med3_i32 v8, v8, 0, 13
	v_bfe_u32 v24, v14, 20, 11
	v_or_b32_e32 v25, 0x1000, v21
	v_lshl_or_b32 v1, v1, 9, 0x7c00
	s_wait_alu 0xfffd
	v_cndmask_b32_e32 v5, 0x7c00, v5, vcc_lo
	v_cmp_eq_u32_e32 vcc_lo, 0x40f, v19
	v_and_or_b32 v23, 0x8000, v26, v23
	v_lshrrev_b32_e32 v28, v8, v25
	v_lshrrev_b32_e32 v22, 16, v22
	s_wait_alu 0xfffd
	v_cndmask_b32_e32 v1, v5, v1, vcc_lo
	v_lshrrev_b32_e32 v5, 16, v20
	v_cmp_ne_u32_e32 vcc_lo, 0, v13
	v_cvt_f64_f32_e32 v[19:20], v7
	v_lshrrev_b32_e32 v13, 8, v14
	v_sub_nc_u32_e32 v7, 0x3f1, v24
	v_and_or_b32 v1, 0x8000, v5, v1
	v_lshlrev_b32_e32 v5, v8, v28
	s_wait_alu 0xfffd
	v_cndmask_b32_e64 v8, 0, 1, vcc_lo
	v_and_b32_e32 v23, 0xffff, v23
	s_delay_alu instid0(VALU_DEP_3) | instskip(SKIP_1) | instid1(VALU_DEP_4)
	v_cmp_ne_u32_e32 vcc_lo, v5, v25
	v_add_nc_u32_e32 v25, 0xfffffc10, v27
	v_and_or_b32 v26, 0xffe, v13, v8
	s_delay_alu instid0(VALU_DEP_4)
	v_lshl_or_b32 v1, v1, 16, v23
	s_wait_alu 0xfffd
	v_cndmask_b32_e64 v5, 0, 1, vcc_lo
	v_mul_f64_e32 v[17:18], s[8:9], v[17:18]
	v_lshl_or_b32 v13, v25, 12, v21
	v_cmp_gt_i32_e32 vcc_lo, 1, v25
	v_or_b32_e32 v27, 0x1000, v26
	v_or_b32_e32 v5, v28, v5
	v_med3_i32 v28, v7, 0, 13
	ds_load_2addr_b32 v[7:8], v12 offset0:8 offset1:74
	s_wait_alu 0xfffd
	v_cndmask_b32_e32 v5, v13, v5, vcc_lo
	v_lshrrev_b32_e32 v29, v28, v27
	v_add_co_u32 v12, vcc_lo, v15, s2
	s_wait_alu 0xfffd
	v_add_co_ci_u32_e32 v13, vcc_lo, s3, v16, vcc_lo
	v_and_b32_e32 v23, 7, v5
	v_lshlrev_b32_e32 v28, v28, v29
	v_add_co_u32 v15, vcc_lo, v12, s2
	s_wait_alu 0xfffd
	v_add_co_ci_u32_e32 v16, vcc_lo, s3, v13, vcc_lo
	v_cmp_lt_i32_e32 vcc_lo, 5, v23
	v_cmp_eq_u32_e64 s0, 3, v23
	v_cmp_ne_u32_e64 s1, v28, v27
	v_lshrrev_b32_e32 v5, 2, v5
	v_add_nc_u32_e32 v27, 0xfffffc10, v24
	s_wait_dscnt 0x0
	v_lshrrev_b32_e32 v28, 16, v7
	s_or_b32 vcc_lo, s0, vcc_lo
	v_cndmask_b32_e64 v23, 0, 1, s1
	s_wait_alu 0xfffe
	v_add_co_ci_u32_e32 v5, vcc_lo, 0, v5, vcc_lo
	v_mul_f64_e32 v[19:20], s[8:9], v[19:20]
	v_cmp_ne_u32_e32 vcc_lo, 0, v21
	v_or_b32_e32 v23, v29, v23
	v_mul_f16_e32 v29, v32, v28
	v_lshl_or_b32 v24, v27, 12, v26
	s_clause 0x1
	global_store_b32 v[12:13], v3, off
	global_store_b32 v[15:16], v1, off
	s_wait_alu 0xfffd
	v_cndmask_b32_e64 v21, 0, 1, vcc_lo
	v_cmp_gt_i32_e32 vcc_lo, 1, v27
	v_fmac_f16_e32 v29, v83, v7
	v_and_or_b32 v17, 0x1ff, v18, v17
	v_mul_f16_e32 v7, v32, v7
	v_lshl_or_b32 v21, v21, 9, 0x7c00
	s_wait_alu 0xfffd
	v_cndmask_b32_e32 v30, v24, v23, vcc_lo
	v_cmp_gt_i32_e32 vcc_lo, 31, v25
	v_cvt_f32_f16_e32 v23, v29
	v_cmp_ne_u32_e64 s0, 0, v17
	v_fma_f16 v7, v83, v28, -v7
	v_and_b32_e32 v31, 7, v30
	s_wait_alu 0xfffd
	v_cndmask_b32_e32 v5, 0x7c00, v5, vcc_lo
	v_cmp_eq_u32_e32 vcc_lo, 0x40f, v25
	v_cvt_f64_f32_e32 v[23:24], v23
	s_wait_alu 0xf1ff
	v_cndmask_b32_e64 v17, 0, 1, s0
	v_cmp_eq_u32_e64 s0, 3, v31
	v_lshrrev_b32_e32 v29, 2, v30
	s_wait_alu 0xfffd
	v_cndmask_b32_e32 v5, v5, v21, vcc_lo
	v_cmp_lt_i32_e32 vcc_lo, 5, v31
	v_lshrrev_b32_e32 v21, 8, v18
	v_bfe_u32 v25, v18, 20, 11
	v_cvt_f32_f16_e32 v7, v7
	v_and_or_b32 v5, 0x8000, v22, v5
	s_or_b32 vcc_lo, s0, vcc_lo
	v_and_or_b32 v17, 0xffe, v21, v17
	s_wait_alu 0xfffe
	v_add_co_ci_u32_e32 v29, vcc_lo, 0, v29, vcc_lo
	v_sub_nc_u32_e32 v21, 0x3f1, v25
	v_cmp_ne_u32_e32 vcc_lo, 0, v26
	v_or_b32_e32 v30, 0x1000, v17
	v_add_nc_u32_e32 v25, 0xfffffc10, v25
	v_and_or_b32 v19, 0x1ff, v20, v19
	v_med3_i32 v21, v21, 0, 13
	s_wait_alu 0xfffd
	v_cndmask_b32_e64 v26, 0, 1, vcc_lo
	v_cmp_gt_i32_e32 vcc_lo, 31, v27
	v_and_b32_e32 v5, 0xffff, v5
	v_lshrrev_b32_e32 v18, 16, v18
	v_lshrrev_b32_e32 v32, 16, v79
	v_lshl_or_b32 v26, v26, 9, 0x7c00
	s_wait_alu 0xfffd
	v_cndmask_b32_e32 v22, 0x7c00, v29, vcc_lo
	v_lshrrev_b32_e32 v29, v21, v30
	v_cmp_eq_u32_e32 vcc_lo, 0x40f, v27
	v_bfe_u32 v27, v20, 20, 11
	s_wait_alu 0xfffd
	s_delay_alu instid0(VALU_DEP_3)
	v_dual_cndmask_b32 v26, v22, v26 :: v_dual_lshlrev_b32 v21, v21, v29
	v_cmp_ne_u32_e32 vcc_lo, 0, v19
	v_lshrrev_b32_e32 v22, 8, v20
	v_mul_f64_e32 v[23:24], s[8:9], v[23:24]
	s_wait_alu 0xfffd
	v_cndmask_b32_e64 v19, 0, 1, vcc_lo
	v_cmp_ne_u32_e32 vcc_lo, v21, v30
	v_sub_nc_u32_e32 v30, 0x3f1, v27
	s_delay_alu instid0(VALU_DEP_3)
	v_and_or_b32 v19, 0xffe, v22, v19
	s_wait_alu 0xfffd
	v_cndmask_b32_e64 v28, 0, 1, vcc_lo
	v_cvt_f64_f32_e32 v[21:22], v7
	v_lshrrev_b32_e32 v7, 16, v14
	v_cmp_gt_i32_e32 vcc_lo, 1, v25
	v_med3_i32 v30, v30, 0, 13
	v_or_b32_e32 v14, v29, v28
	v_lshl_or_b32 v28, v25, 12, v17
	v_or_b32_e32 v29, 0x1000, v19
	v_and_or_b32 v7, 0x8000, v7, v26
	s_wait_alu 0xfffd
	s_delay_alu instid0(VALU_DEP_3) | instskip(NEXT) | instid1(VALU_DEP_3)
	v_cndmask_b32_e32 v14, v28, v14, vcc_lo
	v_lshrrev_b32_e32 v26, v30, v29
	v_add_co_u32 v12, vcc_lo, v15, s2
	v_lshl_or_b32 v1, v7, 16, v5
	s_delay_alu instid0(VALU_DEP_4) | instskip(NEXT) | instid1(VALU_DEP_4)
	v_and_b32_e32 v3, 7, v14
	v_lshlrev_b32_e32 v5, v30, v26
	s_wait_alu 0xfffd
	v_add_co_ci_u32_e32 v13, vcc_lo, s3, v16, vcc_lo
	v_add_nc_u32_e32 v7, 0xfffffc10, v27
	v_cmp_lt_i32_e32 vcc_lo, 5, v3
	v_cmp_eq_u32_e64 s0, 3, v3
	v_lshrrev_b32_e32 v3, 2, v14
	v_cmp_ne_u32_e64 s1, v5, v29
	v_lshrrev_b32_e32 v27, 16, v6
	v_lshl_or_b32 v14, v7, 12, v19
	s_or_b32 vcc_lo, s0, vcc_lo
	v_lshrrev_b32_e32 v29, 16, v81
	s_wait_alu 0xfffe
	v_add_co_ci_u32_e32 v3, vcc_lo, 0, v3, vcc_lo
	v_cndmask_b32_e64 v5, 0, 1, s1
	v_cmp_ne_u32_e32 vcc_lo, 0, v17
	v_mul_f16_e32 v17, v29, v27
	v_bfe_u32 v28, v24, 20, 11
	v_cmp_eq_u32_e64 s1, 0x40f, v25
	v_or_b32_e32 v5, v26, v5
	s_wait_alu 0xfffd
	v_cndmask_b32_e64 v16, 0, 1, vcc_lo
	v_cmp_gt_i32_e32 vcc_lo, 1, v7
	v_fmac_f16_e32 v17, v81, v6
	v_lshrrev_b32_e32 v26, 8, v24
	v_mul_f16_e32 v6, v29, v6
	s_wait_alu 0xfffd
	v_cndmask_b32_e32 v5, v14, v5, vcc_lo
	v_mul_f64_e32 v[14:15], s[8:9], v[21:22]
	v_and_or_b32 v21, 0x1ff, v24, v23
	v_cmp_gt_i32_e32 vcc_lo, 31, v25
	v_lshl_or_b32 v22, v16, 9, 0x7c00
	v_and_b32_e32 v23, 7, v5
	v_cvt_f32_f16_e32 v16, v17
	v_lshrrev_b32_e32 v5, 2, v5
	s_wait_alu 0xfffd
	v_cndmask_b32_e32 v3, 0x7c00, v3, vcc_lo
	v_cmp_ne_u32_e32 vcc_lo, 0, v21
	v_cmp_eq_u32_e64 s0, 3, v23
	v_cvt_f64_f32_e32 v[16:17], v16
	v_lshrrev_b32_e32 v24, 16, v24
	s_wait_alu 0xf1ff
	v_cndmask_b32_e64 v3, v3, v22, s1
	s_wait_alu 0xfffd
	v_cndmask_b32_e64 v21, 0, 1, vcc_lo
	v_cmp_lt_i32_e32 vcc_lo, 5, v23
	s_delay_alu instid0(VALU_DEP_3) | instskip(NEXT) | instid1(VALU_DEP_3)
	v_and_or_b32 v3, 0x8000, v18, v3
	v_and_or_b32 v23, 0xffe, v26, v21
	v_sub_nc_u32_e32 v21, 0x3f1, v28
	s_or_b32 vcc_lo, s0, vcc_lo
	v_add_nc_u32_e32 v26, 0xfffffc10, v28
	s_wait_alu 0xfffe
	v_add_co_ci_u32_e32 v5, vcc_lo, 0, v5, vcc_lo
	v_or_b32_e32 v22, 0x1000, v23
	v_med3_i32 v21, v21, 0, 13
	v_cmp_ne_u32_e32 vcc_lo, 0, v19
	v_lshl_or_b32 v28, v26, 12, v23
	v_and_b32_e32 v3, 0xffff, v3
	s_mul_i32 s0, s5, 0xfffff190
	v_lshrrev_b32_e32 v25, v21, v22
	s_wait_alu 0xfffd
	v_cndmask_b32_e64 v19, 0, 1, vcc_lo
	v_cmp_gt_i32_e32 vcc_lo, 31, v7
	s_wait_alu 0xfffe
	s_sub_co_i32 s5, s0, s4
	v_lshlrev_b32_e32 v18, v21, v25
	v_lshl_or_b32 v19, v19, 9, 0x7c00
	s_wait_alu 0xfffd
	v_cndmask_b32_e32 v5, 0x7c00, v5, vcc_lo
	v_cmp_eq_u32_e32 vcc_lo, 0x40f, v7
	s_wait_alu 0xfffd
	s_delay_alu instid0(VALU_DEP_2)
	v_cndmask_b32_e32 v7, v5, v19, vcc_lo
	v_fma_f16 v5, v81, v27, -v6
	v_and_or_b32 v6, 0x1ff, v15, v14
	v_cmp_ne_u32_e32 vcc_lo, v18, v22
	v_lshrrev_b32_e32 v14, 16, v20
	v_lshrrev_b32_e32 v20, 8, v15
	v_cvt_f32_f16_e32 v5, v5
	v_mul_f64_e32 v[16:17], s[8:9], v[16:17]
	s_wait_alu 0xfffd
	v_cndmask_b32_e64 v18, 0, 1, vcc_lo
	v_cmp_ne_u32_e32 vcc_lo, 0, v6
	v_and_or_b32 v7, 0x8000, v14, v7
	s_delay_alu instid0(VALU_DEP_3)
	v_or_b32_e32 v22, v25, v18
	s_wait_alu 0xfffd
	v_cndmask_b32_e64 v6, 0, 1, vcc_lo
	v_bfe_u32 v25, v15, 20, 11
	v_cvt_f64_f32_e32 v[18:19], v5
	v_cmp_gt_i32_e32 vcc_lo, 1, v26
	v_lshl_or_b32 v3, v7, 16, v3
	v_and_or_b32 v27, 0xffe, v20, v6
	ds_load_2addr_b32 v[5:6], v11 offset0:148 offset1:214
	v_sub_nc_u32_e32 v11, 0x3f1, v25
	s_wait_alu 0xfffd
	v_dual_cndmask_b32 v22, v28, v22 :: v_dual_add_nc_u32 v25, 0xfffffc10, v25
	v_or_b32_e32 v29, 0x1000, v27
	v_mad_co_u64_u32 v[20:21], null, 0xfffff190, s4, v[12:13]
	v_med3_i32 v11, v11, 0, 13
	s_delay_alu instid0(VALU_DEP_4) | instskip(SKIP_1) | instid1(VALU_DEP_3)
	v_and_b32_e32 v28, 7, v22
	v_lshrrev_b32_e32 v22, 2, v22
	v_lshrrev_b32_e32 v14, v11, v29
	s_delay_alu instid0(VALU_DEP_3)
	v_cmp_lt_i32_e32 vcc_lo, 5, v28
	v_cmp_eq_u32_e64 s0, 3, v28
	s_wait_alu 0xfffe
	v_add_nc_u32_e32 v21, s5, v21
	global_store_b32 v[12:13], v1, off
	global_store_b32 v[20:21], v3, off
	v_lshlrev_b32_e32 v7, v11, v14
	s_wait_dscnt 0x0
	v_lshrrev_b32_e32 v11, 16, v5
	s_or_b32 vcc_lo, s0, vcc_lo
	s_wait_alu 0xfffe
	v_add_co_ci_u32_e32 v22, vcc_lo, 0, v22, vcc_lo
	v_cmp_ne_u32_e64 s1, v7, v29
	v_mul_f16_e32 v28, v32, v11
	v_cmp_ne_u32_e32 vcc_lo, 0, v23
	v_lshrrev_b32_e32 v30, 8, v17
	v_bfe_u32 v31, v17, 20, 11
	s_wait_alu 0xf1ff
	v_cndmask_b32_e64 v7, 0, 1, s1
	v_fmac_f16_e32 v28, v79, v5
	s_wait_alu 0xfffd
	v_cndmask_b32_e64 v29, 0, 1, vcc_lo
	v_cmp_gt_i32_e32 vcc_lo, 1, v25
	v_mul_f64_e32 v[18:19], s[8:9], v[18:19]
	v_or_b32_e32 v7, v14, v7
	v_lshl_or_b32 v14, v25, 12, v27
	v_cvt_f32_f16_e32 v23, v28
	v_lshl_or_b32 v28, v29, 9, 0x7c00
	v_mul_f16_e32 v5, v32, v5
	s_wait_alu 0xfffd
	v_cndmask_b32_e32 v7, v14, v7, vcc_lo
	v_cmp_gt_i32_e32 vcc_lo, 31, v26
	v_and_or_b32 v14, 0x1ff, v17, v16
	v_fma_f16 v5, v79, v11, -v5
	v_lshrrev_b32_e32 v11, 16, v15
	s_wait_alu 0xfffd
	v_dual_cndmask_b32 v16, 0x7c00, v22 :: v_dual_and_b32 v29, 7, v7
	v_cvt_f64_f32_e32 v[22:23], v23
	v_cmp_ne_u32_e32 vcc_lo, 0, v14
	v_lshrrev_b32_e32 v7, 2, v7
	s_delay_alu instid0(VALU_DEP_4) | instskip(SKIP_4) | instid1(VALU_DEP_2)
	v_cmp_eq_u32_e64 s0, 3, v29
	v_cvt_f32_f16_e32 v5, v5
	s_wait_alu 0xfffd
	v_cndmask_b32_e64 v14, 0, 1, vcc_lo
	v_cmp_eq_u32_e32 vcc_lo, 0x40f, v26
	v_and_or_b32 v26, 0xffe, v30, v14
	s_wait_alu 0xfffd
	v_cndmask_b32_e32 v16, v16, v28, vcc_lo
	v_cmp_lt_i32_e32 vcc_lo, 5, v29
	v_sub_nc_u32_e32 v14, 0x3f1, v31
	v_or_b32_e32 v28, 0x1000, v26
	s_delay_alu instid0(VALU_DEP_4) | instskip(SKIP_1) | instid1(VALU_DEP_3)
	v_and_or_b32 v16, 0x8000, v24, v16
	s_or_b32 vcc_lo, s0, vcc_lo
	v_med3_i32 v14, v14, 0, 13
	s_wait_alu 0xfffe
	v_add_co_ci_u32_e32 v7, vcc_lo, 0, v7, vcc_lo
	v_cmp_ne_u32_e32 vcc_lo, 0, v27
	v_and_b32_e32 v16, 0xffff, v16
	v_lshrrev_b32_e32 v29, v14, v28
	v_and_or_b32 v18, 0x1ff, v19, v18
	s_wait_alu 0xfffd
	v_cndmask_b32_e64 v27, 0, 1, vcc_lo
	v_cmp_gt_i32_e32 vcc_lo, 31, v25
	v_lshlrev_b32_e32 v14, v14, v29
	s_delay_alu instid0(VALU_DEP_3)
	v_lshl_or_b32 v27, v27, 9, 0x7c00
	s_wait_alu 0xfffd
	v_cndmask_b32_e32 v7, 0x7c00, v7, vcc_lo
	v_cmp_eq_u32_e32 vcc_lo, 0x40f, v25
	v_add_nc_u32_e32 v25, 0xfffffc10, v31
	s_wait_alu 0xfffd
	s_delay_alu instid0(VALU_DEP_3)
	v_cndmask_b32_e32 v7, v7, v27, vcc_lo
	v_cmp_ne_u32_e32 vcc_lo, v14, v28
	v_mul_f64_e32 v[14:15], s[8:9], v[22:23]
	v_cvt_f64_f32_e32 v[22:23], v5
	v_bfe_u32 v27, v19, 20, 11
	v_and_or_b32 v7, 0x8000, v11, v7
	s_wait_alu 0xfffd
	v_cndmask_b32_e64 v24, 0, 1, vcc_lo
	v_cmp_ne_u32_e32 vcc_lo, 0, v18
	v_lshrrev_b32_e32 v18, 8, v19
	v_lshl_or_b32 v1, v7, 16, v16
	s_delay_alu instid0(VALU_DEP_4)
	v_or_b32_e32 v11, v29, v24
	s_wait_alu 0xfffd
	v_cndmask_b32_e64 v5, 0, 1, vcc_lo
	v_lshl_or_b32 v24, v25, 12, v26
	v_cmp_gt_i32_e32 vcc_lo, 1, v25
	v_lshrrev_b32_e32 v16, 16, v9
	v_lshrrev_b32_e32 v29, 16, v77
	v_and_or_b32 v5, 0xffe, v18, v5
	v_sub_nc_u32_e32 v18, 0x3f1, v27
	s_wait_alu 0xfffd
	v_cndmask_b32_e32 v24, v24, v11, vcc_lo
	v_add_co_u32 v11, vcc_lo, v20, s2
	v_or_b32_e32 v28, 0x1000, v5
	v_med3_i32 v18, v18, 0, 13
	s_delay_alu instid0(VALU_DEP_4) | instskip(SKIP_2) | instid1(VALU_DEP_3)
	v_and_b32_e32 v3, 7, v24
	s_wait_alu 0xfffd
	v_add_co_ci_u32_e32 v12, vcc_lo, s3, v21, vcc_lo
	v_lshrrev_b32_e32 v7, v18, v28
	s_delay_alu instid0(VALU_DEP_3)
	v_cmp_lt_i32_e32 vcc_lo, 5, v3
	v_cmp_eq_u32_e64 s0, 3, v3
	v_lshrrev_b32_e32 v3, 2, v24
	v_add_nc_u32_e32 v24, 0xfffffc10, v27
	v_lshlrev_b32_e32 v13, v18, v7
	v_mul_f16_e32 v18, v29, v16
	s_or_b32 vcc_lo, s0, vcc_lo
	global_store_b32 v[11:12], v1, off
	s_wait_alu 0xfffe
	v_add_co_ci_u32_e32 v3, vcc_lo, 0, v3, vcc_lo
	v_cmp_ne_u32_e64 s1, v13, v28
	v_and_or_b32 v20, 0x1ff, v15, v14
	v_fmac_f16_e32 v18, v77, v9
	v_lshrrev_b32_e32 v27, 8, v15
	v_bfe_u32 v28, v15, 20, 11
	s_wait_alu 0xf1ff
	v_cndmask_b32_e64 v13, 0, 1, s1
	v_cmp_ne_u32_e32 vcc_lo, 0, v20
	v_cvt_f32_f16_e32 v18, v18
	v_cmp_eq_u32_e64 s1, 0x40f, v25
	v_mul_f16_e32 v9, v29, v9
	v_or_b32_e32 v7, v7, v13
	v_mul_f64_e32 v[13:14], s[8:9], v[22:23]
	v_lshl_or_b32 v22, v24, 12, v5
	s_wait_alu 0xfffd
	v_cndmask_b32_e64 v23, 0, 1, vcc_lo
	v_cmp_gt_i32_e32 vcc_lo, 1, v24
	v_cvt_f64_f32_e32 v[20:21], v18
	v_fma_f16 v9, v77, v16, -v9
	s_wait_alu 0xfffd
	v_cndmask_b32_e32 v7, v22, v7, vcc_lo
	v_cmp_ne_u32_e32 vcc_lo, 0, v26
	v_and_or_b32 v22, 0xffe, v27, v23
	v_sub_nc_u32_e32 v23, 0x3f1, v28
	v_cvt_f32_f16_e32 v9, v9
	v_and_b32_e32 v26, 7, v7
	s_wait_alu 0xfffd
	v_cndmask_b32_e64 v18, 0, 1, vcc_lo
	v_cmp_gt_i32_e32 vcc_lo, 31, v25
	v_or_b32_e32 v27, 0x1000, v22
	v_med3_i32 v23, v23, 0, 13
	v_cmp_eq_u32_e64 s0, 3, v26
	v_lshrrev_b32_e32 v7, 2, v7
	s_wait_alu 0xfffd
	v_cndmask_b32_e32 v3, 0x7c00, v3, vcc_lo
	v_cmp_lt_i32_e32 vcc_lo, 5, v26
	v_lshl_or_b32 v18, v18, 9, 0x7c00
	v_lshrrev_b32_e32 v26, v23, v27
	v_add_nc_u32_e32 v25, 0xfffffc10, v28
	v_lshrrev_b32_e32 v28, 16, v75
	s_or_b32 vcc_lo, s0, vcc_lo
	v_cndmask_b32_e64 v3, v3, v18, s1
	s_wait_alu 0xfffe
	v_add_co_ci_u32_e32 v7, vcc_lo, 0, v7, vcc_lo
	v_lshlrev_b32_e32 v18, v23, v26
	v_cmp_gt_i32_e32 vcc_lo, 31, v24
	v_lshrrev_b32_e32 v23, 16, v17
	v_cmp_eq_u32_e64 s1, 0x40f, v25
	s_wait_alu 0xfffd
	v_cndmask_b32_e32 v7, 0x7c00, v7, vcc_lo
	v_cmp_ne_u32_e32 vcc_lo, v18, v27
	v_and_or_b32 v13, 0x1ff, v14, v13
	v_bfe_u32 v27, v14, 20, 11
	v_and_or_b32 v1, 0x8000, v23, v3
	s_wait_alu 0xfffd
	v_cndmask_b32_e64 v17, 0, 1, vcc_lo
	v_cmp_ne_u32_e32 vcc_lo, 0, v5
	v_add_nc_u32_e32 v23, 0xfffffc10, v27
	v_and_b32_e32 v1, 0xffff, v1
	s_delay_alu instid0(VALU_DEP_4)
	v_or_b32_e32 v18, v26, v17
	s_wait_alu 0xfffd
	v_cndmask_b32_e64 v5, 0, 1, vcc_lo
	v_cmp_ne_u32_e32 vcc_lo, 0, v13
	v_lshl_or_b32 v26, v25, 12, v22
	v_mul_f64_e32 v[16:17], s[8:9], v[20:21]
	v_cvt_f64_f32_e32 v[20:21], v9
	v_lshrrev_b32_e32 v9, 8, v14
	s_wait_alu 0xfffd
	v_cndmask_b32_e64 v13, 0, 1, vcc_lo
	v_cmp_gt_i32_e32 vcc_lo, 1, v25
	v_lshl_or_b32 v5, v5, 9, 0x7c00
	s_delay_alu instid0(VALU_DEP_3) | instskip(SKIP_4) | instid1(VALU_DEP_2)
	v_and_or_b32 v13, 0xffe, v9, v13
	s_wait_alu 0xfffd
	v_cndmask_b32_e32 v18, v26, v18, vcc_lo
	v_sub_nc_u32_e32 v9, 0x3f1, v27
	v_cmp_eq_u32_e32 vcc_lo, 0x40f, v24
	v_med3_i32 v24, v9, 0, 13
	s_wait_alu 0xfffd
	v_cndmask_b32_e32 v5, v7, v5, vcc_lo
	v_lshrrev_b32_e32 v7, 16, v19
	v_or_b32_e32 v19, 0x1000, v13
	v_and_b32_e32 v9, 7, v18
	s_delay_alu instid0(VALU_DEP_3) | instskip(NEXT) | instid1(VALU_DEP_3)
	v_and_or_b32 v3, 0x8000, v7, v5
	v_lshrrev_b32_e32 v5, v24, v19
	s_delay_alu instid0(VALU_DEP_3)
	v_cmp_lt_i32_e32 vcc_lo, 5, v9
	v_cmp_eq_u32_e64 s0, 3, v9
	v_lshrrev_b32_e32 v7, 2, v18
	ds_load_2addr_b32 v[9:10], v10 offset0:32 offset1:98
	v_lshlrev_b32_e32 v18, v24, v5
	v_lshl_or_b32 v1, v3, 16, v1
	s_or_b32 vcc_lo, s0, vcc_lo
	s_wait_alu 0xfffe
	v_add_co_ci_u32_e32 v7, vcc_lo, 0, v7, vcc_lo
	v_cmp_ne_u32_e32 vcc_lo, v18, v19
	v_and_or_b32 v16, 0x1ff, v17, v16
	s_wait_alu 0xfffd
	v_cndmask_b32_e64 v18, 0, 1, vcc_lo
	v_cmp_gt_i32_e32 vcc_lo, 31, v25
	v_bfe_u32 v24, v17, 20, 11
	v_lshrrev_b32_e32 v25, 16, v15
	s_delay_alu instid0(VALU_DEP_4)
	v_or_b32_e32 v5, v5, v18
	s_wait_alu 0xfffd
	v_cndmask_b32_e32 v3, 0x7c00, v7, vcc_lo
	v_cmp_ne_u32_e32 vcc_lo, 0, v22
	v_lshl_or_b32 v7, v23, 12, v13
	v_mul_f64_e32 v[18:19], s[8:9], v[20:21]
	v_lshrrev_b32_e32 v20, 8, v17
	s_wait_alu 0xfffd
	v_cndmask_b32_e64 v22, 0, 1, vcc_lo
	v_cmp_gt_i32_e32 vcc_lo, 1, v23
	s_delay_alu instid0(VALU_DEP_2)
	v_lshl_or_b32 v22, v22, 9, 0x7c00
	s_wait_alu 0xfffd
	v_cndmask_b32_e32 v5, v7, v5, vcc_lo
	v_cmp_ne_u32_e32 vcc_lo, 0, v16
	s_wait_dscnt 0x0
	v_lshrrev_b32_e32 v7, 16, v9
	v_cndmask_b32_e64 v3, v3, v22, s1
	v_and_b32_e32 v26, 7, v5
	s_wait_alu 0xfffd
	v_cndmask_b32_e64 v16, 0, 1, vcc_lo
	v_mul_f16_e32 v21, v28, v7
	v_lshrrev_b32_e32 v5, 2, v5
	v_and_or_b32 v3, 0x8000, v25, v3
	v_cmp_lt_i32_e32 vcc_lo, 5, v26
	v_and_or_b32 v27, 0xffe, v20, v16
	v_sub_nc_u32_e32 v16, 0x3f1, v24
	v_fmac_f16_e32 v21, v75, v9
	v_cmp_eq_u32_e64 s0, 3, v26
	v_mul_f16_e32 v9, v28, v9
	v_or_b32_e32 v26, 0x1000, v27
	v_med3_i32 v16, v16, 0, 13
	v_cvt_f32_f16_e32 v20, v21
	s_or_b32 vcc_lo, s0, vcc_lo
	v_fma_f16 v7, v75, v7, -v9
	s_wait_alu 0xfffe
	v_add_co_ci_u32_e32 v5, vcc_lo, 0, v5, vcc_lo
	v_lshrrev_b32_e32 v22, v16, v26
	v_cmp_ne_u32_e32 vcc_lo, 0, v13
	v_cvt_f64_f32_e32 v[20:21], v20
	v_add_nc_u32_e32 v24, 0xfffffc10, v24
	v_cvt_f32_f16_e32 v7, v7
	v_lshlrev_b32_e32 v15, v16, v22
	s_wait_alu 0xfffd
	v_cndmask_b32_e64 v13, 0, 1, vcc_lo
	v_cmp_gt_i32_e32 vcc_lo, 31, v23
	v_and_or_b32 v16, 0x1ff, v19, v18
	v_and_b32_e32 v3, 0xffff, v3
	v_add_co_u32 v11, s1, v11, s2
	s_wait_alu 0xfffd
	v_cndmask_b32_e32 v5, 0x7c00, v5, vcc_lo
	v_cmp_ne_u32_e32 vcc_lo, v15, v26
	v_lshl_or_b32 v13, v13, 9, 0x7c00
	v_lshrrev_b32_e32 v26, 16, v73
	s_wait_alu 0xf1ff
	v_add_co_ci_u32_e64 v12, s1, s3, v12, s1
	s_wait_alu 0xfffd
	v_cndmask_b32_e64 v15, 0, 1, vcc_lo
	v_cmp_eq_u32_e32 vcc_lo, 0x40f, v23
	v_bfe_u32 v23, v19, 20, 11
	s_delay_alu instid0(VALU_DEP_3)
	v_or_b32_e32 v9, v22, v15
	s_wait_alu 0xfffd
	v_cndmask_b32_e32 v5, v5, v13, vcc_lo
	v_cmp_ne_u32_e32 vcc_lo, 0, v16
	v_lshl_or_b32 v13, v24, 12, v27
	v_cvt_f64_f32_e32 v[15:16], v7
	v_lshrrev_b32_e32 v22, 8, v19
	v_lshrrev_b32_e32 v19, 16, v19
	s_wait_alu 0xfffd
	v_cndmask_b32_e64 v18, 0, 1, vcc_lo
	v_cmp_gt_i32_e32 vcc_lo, 1, v24
	s_delay_alu instid0(VALU_DEP_2) | instskip(SKIP_4) | instid1(VALU_DEP_3)
	v_and_or_b32 v22, 0xffe, v22, v18
	s_wait_alu 0xfffd
	v_cndmask_b32_e32 v7, v13, v9, vcc_lo
	v_lshrrev_b32_e32 v9, 16, v14
	v_sub_nc_u32_e32 v13, 0x3f1, v23
	v_and_b32_e32 v18, 7, v7
	s_delay_alu instid0(VALU_DEP_3) | instskip(SKIP_1) | instid1(VALU_DEP_4)
	v_and_or_b32 v5, 0x8000, v9, v5
	v_or_b32_e32 v9, 0x1000, v22
	v_med3_i32 v25, v13, 0, 13
	v_mul_f64_e32 v[13:14], s[8:9], v[20:21]
	v_cmp_lt_i32_e32 vcc_lo, 5, v18
	v_cmp_eq_u32_e64 s0, 3, v18
	v_lshrrev_b32_e32 v7, 2, v7
	v_lshrrev_b32_e32 v18, v25, v9
	v_lshl_or_b32 v5, v5, 16, v3
	s_delay_alu instid0(VALU_DEP_4)
	s_or_b32 vcc_lo, s0, vcc_lo
	s_wait_alu 0xfffe
	v_add_co_ci_u32_e32 v7, vcc_lo, 0, v7, vcc_lo
	v_lshlrev_b32_e32 v3, v25, v18
	v_cmp_ne_u32_e32 vcc_lo, 0, v27
	s_wait_alu 0xfffd
	v_cndmask_b32_e64 v20, 0, 1, vcc_lo
	s_delay_alu instid0(VALU_DEP_3)
	v_cmp_ne_u32_e32 vcc_lo, v3, v9
	v_add_nc_u32_e32 v9, 0xfffffc10, v23
	v_lshrrev_b32_e32 v23, 16, v4
	v_mul_f64_e32 v[15:16], s[8:9], v[15:16]
	v_lshl_or_b32 v20, v20, 9, 0x7c00
	s_wait_alu 0xfffd
	v_cndmask_b32_e64 v3, 0, 1, vcc_lo
	v_cmp_gt_i32_e32 vcc_lo, 31, v24
	v_mul_f16_e32 v21, v26, v23
	s_delay_alu instid0(VALU_DEP_3)
	v_or_b32_e32 v3, v18, v3
	s_wait_alu 0xfffd
	v_cndmask_b32_e32 v7, 0x7c00, v7, vcc_lo
	v_lshl_or_b32 v18, v9, 12, v22
	v_cmp_gt_i32_e32 vcc_lo, 1, v9
	v_fmac_f16_e32 v21, v73, v4
	v_mul_f16_e32 v4, v26, v4
	s_wait_alu 0xfffd
	v_cndmask_b32_e32 v3, v18, v3, vcc_lo
	v_cmp_eq_u32_e32 vcc_lo, 0x40f, v24
	v_and_or_b32 v13, 0x1ff, v14, v13
	v_lshrrev_b32_e32 v24, 16, v17
	v_fma_f16 v4, v73, v23, -v4
	v_and_b32_e32 v25, 7, v3
	s_wait_alu 0xfffd
	v_cndmask_b32_e32 v7, v7, v20, vcc_lo
	v_cvt_f32_f16_e32 v20, v21
	v_add_co_u32 v17, vcc_lo, v11, s2
	v_cmp_ne_u32_e64 s1, 0, v13
	s_wait_alu 0xfffd
	v_add_co_ci_u32_e32 v18, vcc_lo, s3, v12, vcc_lo
	v_cvt_f64_f32_e32 v[20:21], v20
	v_cmp_lt_i32_e32 vcc_lo, 5, v25
	v_cmp_eq_u32_e64 s0, 3, v25
	v_lshrrev_b32_e32 v3, 2, v3
	v_and_or_b32 v7, 0x8000, v24, v7
	s_wait_alu 0xf1ff
	v_cndmask_b32_e64 v13, 0, 1, s1
	v_lshrrev_b32_e32 v24, 8, v14
	v_bfe_u32 v25, v14, 20, 11
	s_or_b32 vcc_lo, s0, vcc_lo
	v_cvt_f32_f16_e32 v4, v4
	s_wait_alu 0xfffe
	v_add_co_ci_u32_e32 v3, vcc_lo, 0, v3, vcc_lo
	v_and_or_b32 v13, 0xffe, v24, v13
	v_sub_nc_u32_e32 v24, 0x3f1, v25
	v_cmp_ne_u32_e32 vcc_lo, 0, v22
	v_and_or_b32 v15, 0x1ff, v16, v15
	v_and_b32_e32 v7, 0xffff, v7
	v_or_b32_e32 v23, 0x1000, v13
	v_med3_i32 v24, v24, 0, 13
	s_wait_alu 0xfffd
	v_cndmask_b32_e64 v22, 0, 1, vcc_lo
	v_cmp_gt_i32_e32 vcc_lo, 31, v9
	global_store_b32 v[11:12], v1, off
	global_store_b32 v[17:18], v5, off
	v_lshrrev_b32_e32 v27, v24, v23
	v_lshl_or_b32 v22, v22, 9, 0x7c00
	s_wait_alu 0xfffd
	v_cndmask_b32_e32 v26, 0x7c00, v3, vcc_lo
	v_cvt_f64_f32_e32 v[3:4], v4
	v_cmp_eq_u32_e32 vcc_lo, 0x40f, v9
	s_wait_alu 0xfffd
	s_delay_alu instid0(VALU_DEP_3) | instskip(SKIP_3) | instid1(VALU_DEP_4)
	v_dual_cndmask_b32 v9, v26, v22 :: v_dual_lshlrev_b32 v22, v24, v27
	v_cmp_ne_u32_e32 vcc_lo, 0, v15
	v_lshrrev_b32_e32 v24, 8, v16
	v_bfe_u32 v26, v16, 20, 11
	v_and_or_b32 v9, 0x8000, v19, v9
	v_mul_f64_e32 v[20:21], s[8:9], v[20:21]
	s_wait_alu 0xfffd
	v_cndmask_b32_e64 v15, 0, 1, vcc_lo
	v_cmp_ne_u32_e32 vcc_lo, v22, v23
	v_add_nc_u32_e32 v23, 0xfffffc10, v25
	v_lshl_or_b32 v1, v9, 16, v7
	v_add_nc_u32_e32 v9, 0xfffffc10, v26
	v_and_or_b32 v15, 0xffe, v24, v15
	s_wait_alu 0xfffd
	v_cndmask_b32_e64 v22, 0, 1, vcc_lo
	v_sub_nc_u32_e32 v24, 0x3f1, v26
	v_lshl_or_b32 v25, v23, 12, v13
	v_cmp_gt_i32_e32 vcc_lo, 1, v23
	v_lshrrev_b32_e32 v26, 16, v71
	v_or_b32_e32 v22, v27, v22
	v_or_b32_e32 v27, 0x1000, v15
	v_med3_i32 v24, v24, 0, 13
	s_wait_alu 0xfffd
	s_delay_alu instid0(VALU_DEP_3) | instskip(SKIP_1) | instid1(VALU_DEP_3)
	v_cndmask_b32_e32 v19, v25, v22, vcc_lo
	v_add_co_u32 v11, vcc_lo, v17, s2
	v_lshrrev_b32_e32 v22, v24, v27
	s_wait_alu 0xfffd
	v_add_co_ci_u32_e32 v12, vcc_lo, s3, v18, vcc_lo
	v_and_b32_e32 v5, 7, v19
	v_lshrrev_b32_e32 v17, 2, v19
	v_lshlrev_b32_e32 v7, v24, v22
	v_mul_f64_e32 v[3:4], s[8:9], v[3:4]
	v_lshl_or_b32 v18, v9, 12, v15
	v_cmp_lt_i32_e32 vcc_lo, 5, v5
	v_cmp_eq_u32_e64 s0, 3, v5
	v_cmp_ne_u32_e64 s1, v7, v27
	v_lshrrev_b32_e32 v7, 16, v8
	global_store_b32 v[11:12], v1, off
	s_or_b32 vcc_lo, s0, vcc_lo
	v_cndmask_b32_e64 v5, 0, 1, s1
	v_mul_f16_e32 v19, v26, v7
	v_cmp_eq_u32_e64 s1, 0x40f, v23
	v_lshrrev_b32_e32 v24, 8, v21
	v_bfe_u32 v25, v21, 20, 11
	v_or_b32_e32 v5, v22, v5
	s_wait_alu 0xfffe
	v_add_co_ci_u32_e32 v22, vcc_lo, 0, v17, vcc_lo
	v_cmp_gt_i32_e32 vcc_lo, 1, v9
	v_fmac_f16_e32 v19, v71, v8
	v_and_or_b32 v17, 0x1ff, v21, v20
	v_mul_f16_e32 v8, v26, v8
	v_lshrrev_b32_e32 v21, 16, v21
	s_wait_alu 0xfffd
	v_cndmask_b32_e32 v5, v18, v5, vcc_lo
	v_cmp_ne_u32_e32 vcc_lo, 0, v13
	v_cvt_f32_f16_e32 v18, v19
	v_fma_f16 v7, v71, v7, -v8
	s_delay_alu instid0(VALU_DEP_4)
	v_and_b32_e32 v20, 7, v5
	s_wait_alu 0xfffd
	v_cndmask_b32_e64 v13, 0, 1, vcc_lo
	v_cmp_ne_u32_e32 vcc_lo, 0, v17
	v_cvt_f64_f32_e32 v[17:18], v18
	v_lshrrev_b32_e32 v5, 2, v5
	v_cmp_eq_u32_e64 s0, 3, v20
	v_lshl_or_b32 v13, v13, 9, 0x7c00
	s_wait_alu 0xfffd
	v_cndmask_b32_e64 v19, 0, 1, vcc_lo
	v_cmp_gt_i32_e32 vcc_lo, 31, v23
	v_lshrrev_b32_e32 v23, 16, v14
	v_cvt_f32_f16_e32 v7, v7
	v_and_or_b32 v3, 0x1ff, v4, v3
	v_and_or_b32 v19, 0xffe, v24, v19
	v_sub_nc_u32_e32 v24, 0x3f1, v25
	s_wait_alu 0xfffd
	v_cndmask_b32_e32 v22, 0x7c00, v22, vcc_lo
	v_cmp_lt_i32_e32 vcc_lo, 5, v20
	v_bfe_u32 v26, v4, 20, 11
	v_or_b32_e32 v20, 0x1000, v19
	v_med3_i32 v24, v24, 0, 13
	s_wait_alu 0xf1ff
	v_cndmask_b32_e64 v22, v22, v13, s1
	s_or_b32 vcc_lo, s0, vcc_lo
	s_wait_alu 0xfffe
	v_add_co_ci_u32_e32 v5, vcc_lo, 0, v5, vcc_lo
	v_lshrrev_b32_e32 v13, v24, v20
	v_cmp_ne_u32_e32 vcc_lo, 0, v15
	v_and_or_b32 v1, 0x8000, v23, v22
	v_add_nc_u32_e32 v22, 0xfffffc10, v26
	s_delay_alu instid0(VALU_DEP_4)
	v_lshlrev_b32_e32 v14, v24, v13
	s_wait_alu 0xfffd
	v_cndmask_b32_e64 v15, 0, 1, vcc_lo
	v_cmp_ne_u32_e32 vcc_lo, 0, v3
	v_lshrrev_b32_e32 v24, 8, v4
	v_and_b32_e32 v1, 0xffff, v1
	v_lshrrev_b32_e32 v4, 16, v4
	v_lshl_or_b32 v15, v15, 9, 0x7c00
	s_wait_alu 0xfffd
	v_cndmask_b32_e64 v3, 0, 1, vcc_lo
	v_cmp_ne_u32_e32 vcc_lo, v14, v20
	v_sub_nc_u32_e32 v14, 0x3f1, v26
	v_add_nc_u32_e32 v20, 0xfffffc10, v25
	v_lshrrev_b32_e32 v26, 16, v67
	v_and_or_b32 v3, 0xffe, v24, v3
	s_wait_alu 0xfffd
	v_cndmask_b32_e64 v8, 0, 1, vcc_lo
	v_med3_i32 v28, v14, 0, 13
	v_cmp_gt_i32_e32 vcc_lo, 31, v9
	v_lshl_or_b32 v25, v20, 12, v19
	v_or_b32_e32 v27, 0x1000, v3
	v_or_b32_e32 v24, v13, v8
	v_cvt_f64_f32_e32 v[7:8], v7
	v_mul_f64_e32 v[13:14], s[8:9], v[17:18]
	s_wait_alu 0xfffd
	v_cndmask_b32_e32 v5, 0x7c00, v5, vcc_lo
	v_cmp_gt_i32_e32 vcc_lo, 1, v20
	v_lshrrev_b32_e32 v18, v28, v27
	s_wait_alu 0xfffd
	v_cndmask_b32_e32 v17, v25, v24, vcc_lo
	v_cmp_eq_u32_e32 vcc_lo, 0x40f, v9
	v_lshrrev_b32_e32 v9, 16, v16
	v_lshlrev_b32_e32 v16, v28, v18
	v_lshrrev_b32_e32 v24, 16, v69
	s_wait_alu 0xfffd
	v_cndmask_b32_e32 v5, v5, v15, vcc_lo
	v_and_b32_e32 v15, 7, v17
	v_cmp_ne_u32_e64 s0, v16, v27
	v_lshl_or_b32 v16, v22, 12, v3
	s_delay_alu instid0(VALU_DEP_4) | instskip(NEXT) | instid1(VALU_DEP_4)
	v_and_or_b32 v5, 0x8000, v9, v5
	v_cmp_lt_i32_e32 vcc_lo, 5, v15
	s_wait_alu 0xf1ff
	v_cndmask_b32_e64 v9, 0, 1, s0
	v_cmp_eq_u32_e64 s0, 3, v15
	v_lshrrev_b32_e32 v15, 2, v17
	s_delay_alu instid0(VALU_DEP_3) | instskip(NEXT) | instid1(VALU_DEP_3)
	v_or_b32_e32 v9, v18, v9
	s_or_b32 vcc_lo, s0, vcc_lo
	v_lshrrev_b32_e32 v18, 16, v2
	s_wait_alu 0xfffe
	v_add_co_ci_u32_e32 v15, vcc_lo, 0, v15, vcc_lo
	v_cmp_ne_u32_e32 vcc_lo, 0, v19
	s_delay_alu instid0(VALU_DEP_3)
	v_mul_f16_e32 v19, v24, v18
	s_wait_alu 0xfffd
	v_cndmask_b32_e64 v17, 0, 1, vcc_lo
	v_cmp_gt_i32_e32 vcc_lo, 1, v22
	v_mul_f64_e32 v[7:8], s[8:9], v[7:8]
	v_and_or_b32 v13, 0x1ff, v14, v13
	v_fmac_f16_e32 v19, v69, v2
	v_bfe_u32 v23, v14, 20, 11
	s_wait_alu 0xfffd
	v_cndmask_b32_e32 v9, v16, v9, vcc_lo
	v_cmp_gt_i32_e32 vcc_lo, 31, v20
	v_lshl_or_b32 v16, v17, 9, 0x7c00
	v_cmp_ne_u32_e64 s0, 0, v13
	v_mul_f16_e32 v2, v24, v2
	v_and_b32_e32 v17, 7, v9
	s_wait_alu 0xfffd
	v_cndmask_b32_e32 v15, 0x7c00, v15, vcc_lo
	v_cmp_eq_u32_e32 vcc_lo, 0x40f, v20
	s_wait_alu 0xf1ff
	v_cndmask_b32_e64 v13, 0, 1, s0
	v_lshrrev_b32_e32 v9, 2, v9
	v_cmp_eq_u32_e64 s0, 3, v17
	v_fma_f16 v2, v69, v18, -v2
	s_wait_alu 0xfffd
	v_cndmask_b32_e32 v20, v15, v16, vcc_lo
	v_cmp_lt_i32_e32 vcc_lo, 5, v17
	v_lshrrev_b32_e32 v15, 8, v14
	v_cvt_f32_f16_e32 v16, v19
	v_sub_nc_u32_e32 v17, 0x3f1, v23
	v_cvt_f32_f16_e32 v2, v2
	s_or_b32 vcc_lo, s0, vcc_lo
	v_and_or_b32 v13, 0xffe, v15, v13
	v_cvt_f64_f32_e32 v[15:16], v16
	s_wait_alu 0xfffe
	v_add_co_ci_u32_e32 v9, vcc_lo, 0, v9, vcc_lo
	v_cmp_ne_u32_e32 vcc_lo, 0, v3
	v_or_b32_e32 v19, 0x1000, v13
	v_med3_i32 v17, v17, 0, 13
	v_lshrrev_b32_e32 v14, 16, v14
	s_wait_alu 0xfffd
	v_cndmask_b32_e64 v3, 0, 1, vcc_lo
	v_cmp_gt_i32_e32 vcc_lo, 31, v22
	v_lshrrev_b32_e32 v24, v17, v19
	s_delay_alu instid0(VALU_DEP_3)
	v_lshl_or_b32 v3, v3, 9, 0x7c00
	s_wait_alu 0xfffd
	v_cndmask_b32_e32 v9, 0x7c00, v9, vcc_lo
	v_cmp_eq_u32_e32 vcc_lo, 0x40f, v22
	v_lshrrev_b32_e32 v18, 8, v8
	s_wait_alu 0xfffd
	s_delay_alu instid0(VALU_DEP_3) | instskip(SKIP_3) | instid1(VALU_DEP_4)
	v_cndmask_b32_e32 v3, v9, v3, vcc_lo
	v_lshl_or_b32 v9, v5, 16, v1
	v_lshlrev_b32_e32 v1, v17, v24
	v_and_or_b32 v5, 0x8000, v21, v20
	v_and_or_b32 v17, 0x8000, v4, v3
	;; [unrolled: 1-line block ×3, first 2 shown]
	s_delay_alu instid0(VALU_DEP_4)
	v_cmp_ne_u32_e32 vcc_lo, v1, v19
	v_add_nc_u32_e32 v7, 0xfffffc10, v23
	v_cvt_f64_f32_e32 v[1:2], v2
	v_bfe_u32 v19, v8, 20, 11
	v_and_b32_e32 v5, 0xffff, v5
	s_wait_alu 0xfffd
	v_cndmask_b32_e64 v4, 0, 1, vcc_lo
	v_cmp_ne_u32_e32 vcc_lo, 0, v3
	v_lshl_or_b32 v20, v7, 12, v13
	v_lshl_or_b32 v25, v17, 16, v5
	s_delay_alu instid0(VALU_DEP_4) | instskip(SKIP_3) | instid1(VALU_DEP_2)
	v_or_b32_e32 v4, v24, v4
	s_wait_alu 0xfffd
	v_cndmask_b32_e64 v3, 0, 1, vcc_lo
	v_cmp_gt_i32_e32 vcc_lo, 1, v7
	v_and_or_b32 v21, 0xffe, v18, v3
	v_sub_nc_u32_e32 v18, 0x3f1, v19
	s_wait_alu 0xfffd
	v_cndmask_b32_e32 v20, v20, v4, vcc_lo
	v_mul_f64_e32 v[3:4], s[8:9], v[15:16]
	v_add_co_u32 v11, vcc_lo, v11, s2
	v_or_b32_e32 v22, 0x1000, v21
	v_med3_i32 v18, v18, 0, 13
	v_and_b32_e32 v24, 7, v20
	s_wait_alu 0xfffd
	v_add_co_ci_u32_e32 v12, vcc_lo, s3, v12, vcc_lo
	v_lshrrev_b32_e32 v17, 2, v20
	v_lshrrev_b32_e32 v23, v18, v22
	v_cmp_lt_i32_e32 vcc_lo, 5, v24
	v_cmp_eq_u32_e64 s0, 3, v24
	v_lshrrev_b32_e32 v24, 16, v6
	v_add_nc_u32_e32 v19, 0xfffffc10, v19
	v_lshlrev_b32_e32 v5, v18, v23
	v_mad_co_u64_u32 v[15:16], null, 0xfffff190, s4, v[11:12]
	s_or_b32 vcc_lo, s0, vcc_lo
	v_mul_f16_e32 v18, v26, v24
	s_delay_alu instid0(VALU_DEP_3)
	v_cmp_ne_u32_e64 s1, v5, v22
	s_wait_alu 0xfffe
	v_add_co_ci_u32_e32 v17, vcc_lo, 0, v17, vcc_lo
	v_cmp_ne_u32_e32 vcc_lo, 0, v13
	v_fmac_f16_e32 v18, v67, v6
	s_wait_alu 0xf1ff
	v_cndmask_b32_e64 v5, 0, 1, s1
	v_mul_f64_e32 v[1:2], s[8:9], v[1:2]
	v_lshl_or_b32 v20, v19, 12, v21
	s_wait_alu 0xfffd
	v_cndmask_b32_e64 v13, 0, 1, vcc_lo
	v_cmp_gt_i32_e32 vcc_lo, 1, v19
	v_or_b32_e32 v5, v23, v5
	v_cvt_f32_f16_e32 v18, v18
	v_add_nc_u32_e32 v16, s5, v16
	v_lshl_or_b32 v13, v13, 9, 0x7c00
	global_store_b32 v[11:12], v9, off
	global_store_b32 v[15:16], v25, off
	s_wait_alu 0xfffd
	v_cndmask_b32_e32 v5, v20, v5, vcc_lo
	v_cmp_gt_i32_e32 vcc_lo, 31, v7
	v_and_or_b32 v3, 0x1ff, v4, v3
	s_delay_alu instid0(VALU_DEP_3)
	v_and_b32_e32 v22, 7, v5
	s_wait_alu 0xfffd
	v_cndmask_b32_e32 v20, 0x7c00, v17, vcc_lo
	v_cvt_f64_f32_e32 v[17:18], v18
	v_cmp_eq_u32_e32 vcc_lo, 0x40f, v7
	v_cmp_ne_u32_e64 s0, 0, v3
	v_lshrrev_b32_e32 v5, 2, v5
	s_wait_alu 0xfffd
	v_cndmask_b32_e32 v7, v20, v13, vcc_lo
	v_cmp_lt_i32_e32 vcc_lo, 5, v22
	s_wait_alu 0xf1ff
	v_cndmask_b32_e64 v3, 0, 1, s0
	v_cmp_eq_u32_e64 s0, 3, v22
	v_lshrrev_b32_e32 v13, 8, v4
	v_bfe_u32 v20, v4, 20, 11
	v_and_or_b32 v14, 0x8000, v14, v7
	v_lshrrev_b32_e32 v4, 16, v4
	s_or_b32 vcc_lo, s0, vcc_lo
	v_and_or_b32 v3, 0xffe, v13, v3
	s_wait_alu 0xfffe
	v_add_co_ci_u32_e32 v5, vcc_lo, 0, v5, vcc_lo
	v_sub_nc_u32_e32 v13, 0x3f1, v20
	v_cmp_ne_u32_e32 vcc_lo, 0, v21
	v_or_b32_e32 v22, 0x1000, v3
	v_and_or_b32 v1, 0x1ff, v2, v1
	v_lshrrev_b32_e32 v23, 8, v2
	v_med3_i32 v13, v13, 0, 13
	s_wait_alu 0xfffd
	v_cndmask_b32_e64 v21, 0, 1, vcc_lo
	v_cmp_gt_i32_e32 vcc_lo, 31, v19
	v_and_b32_e32 v14, 0xffff, v14
	v_lshrrev_b32_e32 v7, v13, v22
	s_delay_alu instid0(VALU_DEP_4) | instskip(SKIP_4) | instid1(VALU_DEP_2)
	v_lshl_or_b32 v21, v21, 9, 0x7c00
	s_wait_alu 0xfffd
	v_cndmask_b32_e32 v5, 0x7c00, v5, vcc_lo
	v_cmp_eq_u32_e32 vcc_lo, 0x40f, v19
	s_wait_alu 0xfffd
	v_cndmask_b32_e32 v19, v5, v21, vcc_lo
	v_lshrrev_b32_e32 v21, 16, v8
	v_lshlrev_b32_e32 v8, v13, v7
	v_mul_f16_e32 v13, v26, v6
	v_cmp_ne_u32_e32 vcc_lo, 0, v1
	v_bfe_u32 v26, v2, 20, 11
	v_mul_f64_e32 v[5:6], s[8:9], v[17:18]
	v_add_nc_u32_e32 v17, 0xfffffc10, v20
	v_fma_f16 v13, v67, v24, -v13
	s_wait_alu 0xfffd
	v_cndmask_b32_e64 v1, 0, 1, vcc_lo
	v_cmp_ne_u32_e32 vcc_lo, v8, v22
	v_sub_nc_u32_e32 v18, 0x3f1, v26
	v_lshl_or_b32 v22, v17, 12, v3
	v_cvt_f32_f16_e32 v13, v13
	v_and_or_b32 v1, 0xffe, v23, v1
	s_wait_alu 0xfffd
	v_cndmask_b32_e64 v8, 0, 1, vcc_lo
	v_cmp_gt_i32_e32 vcc_lo, 1, v17
	v_lshrrev_b32_e32 v24, 16, v65
	v_cmp_eq_u32_e64 s1, 0x40f, v17
	v_or_b32_e32 v23, 0x1000, v1
	v_or_b32_e32 v20, v7, v8
	v_cvt_f64_f32_e32 v[7:8], v13
	v_med3_i32 v13, v18, 0, 13
	v_and_or_b32 v18, 0x8000, v21, v19
	v_lshrrev_b32_e32 v2, 16, v2
	s_wait_alu 0xfffd
	v_cndmask_b32_e32 v19, v22, v20, vcc_lo
	v_add_co_u32 v11, vcc_lo, v15, s2
	v_lshrrev_b32_e32 v20, v13, v23
	v_lshrrev_b32_e32 v15, 16, v0
	s_delay_alu instid0(VALU_DEP_4)
	v_and_b32_e32 v9, 7, v19
	s_wait_alu 0xfffd
	v_add_co_ci_u32_e32 v12, vcc_lo, s3, v16, vcc_lo
	v_lshlrev_b32_e32 v13, v13, v20
	v_lshl_or_b32 v18, v18, 16, v14
	v_cmp_lt_i32_e32 vcc_lo, 5, v9
	v_add_nc_u32_e32 v16, 0xfffffc10, v26
	v_mul_f16_e32 v14, v24, v15
	v_cmp_ne_u32_e64 s0, v13, v23
	s_delay_alu instid0(VALU_DEP_2) | instskip(SKIP_1) | instid1(VALU_DEP_2)
	v_fmac_f16_e32 v14, v65, v0
	s_wait_alu 0xf1ff
	v_cndmask_b32_e64 v13, 0, 1, s0
	v_cmp_eq_u32_e64 s0, 3, v9
	v_lshrrev_b32_e32 v9, 2, v19
	v_lshl_or_b32 v19, v16, 12, v1
	v_and_or_b32 v5, 0x1ff, v6, v5
	v_or_b32_e32 v13, v20, v13
	s_or_b32 vcc_lo, s0, vcc_lo
	v_cvt_f32_f16_e32 v14, v14
	s_wait_alu 0xfffe
	v_add_co_ci_u32_e32 v9, vcc_lo, 0, v9, vcc_lo
	v_cmp_gt_i32_e32 vcc_lo, 1, v16
	v_lshrrev_b32_e32 v20, 8, v6
	v_bfe_u32 v21, v6, 20, 11
	s_wait_alu 0xfffd
	v_cndmask_b32_e32 v19, v19, v13, vcc_lo
	v_cmp_ne_u32_e32 vcc_lo, 0, v5
	v_cvt_f64_f32_e32 v[13:14], v14
	v_mul_f64_e32 v[7:8], s[8:9], v[7:8]
	s_delay_alu instid0(VALU_DEP_4)
	v_and_b32_e32 v22, 7, v19
	s_wait_alu 0xfffd
	v_cndmask_b32_e64 v5, 0, 1, vcc_lo
	v_cmp_ne_u32_e32 vcc_lo, 0, v3
	v_lshrrev_b32_e32 v19, 2, v19
	v_cmp_eq_u32_e64 s0, 3, v22
	s_delay_alu instid0(VALU_DEP_4)
	v_and_or_b32 v5, 0xffe, v20, v5
	s_wait_alu 0xfffd
	v_cndmask_b32_e64 v3, 0, 1, vcc_lo
	v_cmp_gt_i32_e32 vcc_lo, 31, v17
	v_sub_nc_u32_e32 v20, 0x3f1, v21
	v_or_b32_e32 v23, 0x1000, v5
	s_delay_alu instid0(VALU_DEP_4) | instskip(SKIP_4) | instid1(VALU_DEP_3)
	v_lshl_or_b32 v3, v3, 9, 0x7c00
	s_wait_alu 0xfffd
	v_cndmask_b32_e32 v9, 0x7c00, v9, vcc_lo
	v_cmp_lt_i32_e32 vcc_lo, 5, v22
	v_med3_i32 v20, v20, 0, 13
	v_cndmask_b32_e64 v3, v9, v3, s1
	s_or_b32 vcc_lo, s0, vcc_lo
	s_delay_alu instid0(VALU_DEP_2)
	v_lshrrev_b32_e32 v9, v20, v23
	s_wait_alu 0xfffe
	v_add_co_ci_u32_e32 v17, vcc_lo, 0, v19, vcc_lo
	v_cmp_ne_u32_e32 vcc_lo, 0, v1
	v_and_or_b32 v4, 0x8000, v4, v3
	v_lshlrev_b32_e32 v19, v20, v9
	v_add_nc_u32_e32 v20, 0xfffffc10, v21
	s_wait_alu 0xfffd
	v_cndmask_b32_e64 v1, 0, 1, vcc_lo
	v_cmp_gt_i32_e32 vcc_lo, 31, v16
	v_and_b32_e32 v4, 0xffff, v4
	s_delay_alu instid0(VALU_DEP_3)
	v_lshl_or_b32 v1, v1, 9, 0x7c00
	s_wait_alu 0xfffd
	v_cndmask_b32_e32 v17, 0x7c00, v17, vcc_lo
	v_cmp_ne_u32_e32 vcc_lo, v19, v23
	v_and_or_b32 v7, 0x1ff, v8, v7
	v_lshrrev_b32_e32 v23, 16, v64
	s_wait_alu 0xfffd
	v_cndmask_b32_e64 v19, 0, 1, vcc_lo
	v_cmp_eq_u32_e32 vcc_lo, 0x40f, v16
	v_mul_f16_e32 v16, v24, v0
	s_delay_alu instid0(VALU_DEP_3)
	v_or_b32_e32 v9, v9, v19
	s_wait_alu 0xfffd
	v_cndmask_b32_e32 v3, v17, v1, vcc_lo
	v_mul_f64_e32 v[0:1], s[8:9], v[13:14]
	v_lshl_or_b32 v13, v20, 12, v5
	v_fma_f16 v14, v65, v15, -v16
	v_cmp_gt_i32_e32 vcc_lo, 1, v20
	v_and_or_b32 v16, 0x8000, v2, v3
	v_bfe_u32 v15, v8, 20, 11
	s_wait_alu 0xfffd
	v_cndmask_b32_e32 v9, v13, v9, vcc_lo
	v_cmp_ne_u32_e32 vcc_lo, 0, v7
	v_cvt_f32_f16_e32 v13, v14
	v_lshrrev_b32_e32 v14, 8, v8
	v_lshl_or_b32 v16, v16, 16, v4
	v_and_b32_e32 v17, 7, v9
	s_wait_alu 0xfffd
	v_cndmask_b32_e64 v7, 0, 1, vcc_lo
	v_cvt_f64_f32_e32 v[2:3], v13
	v_lshrrev_b32_e32 v4, 2, v9
	v_cmp_lt_i32_e32 vcc_lo, 5, v17
	s_delay_alu instid0(VALU_DEP_4)
	v_and_or_b32 v13, 0xffe, v14, v7
	v_lshrrev_b32_e32 v14, 16, v10
	v_sub_nc_u32_e32 v7, 0x3f1, v15
	v_cmp_eq_u32_e64 s0, 3, v17
	v_add_nc_u32_e32 v15, 0xfffffc10, v15
	v_or_b32_e32 v19, 0x1000, v13
	v_mul_f16_e32 v21, v23, v14
	v_med3_i32 v7, v7, 0, 13
	s_or_b32 vcc_lo, s0, vcc_lo
	s_wait_alu 0xfffe
	v_add_co_ci_u32_e32 v4, vcc_lo, 0, v4, vcc_lo
	v_fmac_f16_e32 v21, v64, v10
	v_cmp_ne_u32_e32 vcc_lo, 0, v5
	v_lshrrev_b32_e32 v9, v7, v19
	v_mul_f16_e32 v10, v23, v10
	s_delay_alu instid0(VALU_DEP_4)
	v_cvt_f32_f16_e32 v17, v21
	s_wait_alu 0xfffd
	v_cndmask_b32_e64 v5, 0, 1, vcc_lo
	v_cmp_gt_i32_e32 vcc_lo, 31, v20
	v_lshlrev_b32_e32 v7, v7, v9
	v_and_or_b32 v0, 0x1ff, v1, v0
	s_delay_alu instid0(VALU_DEP_4)
	v_lshl_or_b32 v22, v5, 9, 0x7c00
	s_wait_alu 0xfffd
	v_cndmask_b32_e32 v21, 0x7c00, v4, vcc_lo
	v_cvt_f64_f32_e32 v[4:5], v17
	v_cmp_ne_u32_e32 vcc_lo, v7, v19
	v_lshrrev_b32_e32 v17, 8, v1
	v_bfe_u32 v19, v1, 20, 11
	v_lshrrev_b32_e32 v1, 16, v1
	s_wait_alu 0xfffd
	v_cndmask_b32_e64 v7, 0, 1, vcc_lo
	v_cmp_ne_u32_e32 vcc_lo, 0, v0
	v_mul_f64_e32 v[2:3], s[8:9], v[2:3]
	s_delay_alu instid0(VALU_DEP_3)
	v_or_b32_e32 v7, v9, v7
	s_wait_alu 0xfffd
	v_cndmask_b32_e64 v0, 0, 1, vcc_lo
	v_fma_f16 v9, v64, v14, -v10
	v_lshl_or_b32 v10, v15, 12, v13
	v_cmp_gt_i32_e32 vcc_lo, 1, v15
	v_sub_nc_u32_e32 v14, 0x3f1, v19
	v_and_or_b32 v0, 0xffe, v17, v0
	v_cvt_f32_f16_e32 v9, v9
	v_add_nc_u32_e32 v19, 0xfffffc10, v19
	s_wait_alu 0xfffd
	v_cndmask_b32_e32 v17, v10, v7, vcc_lo
	v_cmp_eq_u32_e32 vcc_lo, 0x40f, v20
	v_or_b32_e32 v23, 0x1000, v0
	v_med3_i32 v14, v14, 0, 13
	v_cvt_f64_f32_e32 v[9:10], v9
	s_wait_alu 0xfffd
	v_cndmask_b32_e32 v20, v21, v22, vcc_lo
	v_and_b32_e32 v22, 7, v17
	v_lshrrev_b32_e32 v21, 16, v6
	v_add_co_u32 v6, vcc_lo, v11, s2
	v_lshrrev_b32_e32 v24, v14, v23
	s_wait_alu 0xfffd
	v_add_co_ci_u32_e32 v7, vcc_lo, s3, v12, vcc_lo
	v_cmp_lt_i32_e32 vcc_lo, 5, v22
	v_cmp_eq_u32_e64 s0, 3, v22
	v_lshrrev_b32_e32 v17, 2, v17
	v_lshlrev_b32_e32 v14, v14, v24
	v_mul_f64_e32 v[4:5], s[8:9], v[4:5]
	v_and_or_b32 v20, 0x8000, v21, v20
	s_or_b32 vcc_lo, s0, vcc_lo
	v_lshl_or_b32 v21, v19, 12, v0
	s_wait_alu 0xfffe
	v_add_co_ci_u32_e32 v17, vcc_lo, 0, v17, vcc_lo
	v_cmp_ne_u32_e64 s1, v14, v23
	v_cmp_ne_u32_e32 vcc_lo, 0, v13
	v_and_or_b32 v2, 0x1ff, v3, v2
	s_wait_alu 0xf1ff
	s_delay_alu instid0(VALU_DEP_3) | instskip(SKIP_3) | instid1(VALU_DEP_3)
	v_cndmask_b32_e64 v14, 0, 1, s1
	s_wait_alu 0xfffd
	v_cndmask_b32_e64 v13, 0, 1, vcc_lo
	v_cmp_gt_i32_e32 vcc_lo, 31, v15
	v_or_b32_e32 v14, v24, v14
	s_delay_alu instid0(VALU_DEP_3)
	v_lshl_or_b32 v13, v13, 9, 0x7c00
	s_wait_alu 0xfffd
	v_cndmask_b32_e32 v17, 0x7c00, v17, vcc_lo
	v_cmp_gt_i32_e32 vcc_lo, 1, v19
	s_wait_alu 0xfffd
	v_cndmask_b32_e32 v14, v21, v14, vcc_lo
	v_cmp_eq_u32_e32 vcc_lo, 0x40f, v15
	v_lshrrev_b32_e32 v15, 16, v8
	v_lshrrev_b32_e32 v21, 8, v3
	v_mul_f64_e32 v[8:9], s[8:9], v[9:10]
	v_bfe_u32 v10, v3, 20, 11
	s_wait_alu 0xfffd
	v_cndmask_b32_e32 v13, v17, v13, vcc_lo
	v_cmp_ne_u32_e32 vcc_lo, 0, v2
	v_and_b32_e32 v17, 7, v14
	v_lshrrev_b32_e32 v14, 2, v14
	v_lshrrev_b32_e32 v3, 16, v3
	v_and_or_b32 v13, 0x8000, v15, v13
	s_wait_alu 0xfffd
	v_cndmask_b32_e64 v2, 0, 1, vcc_lo
	v_cmp_lt_i32_e32 vcc_lo, 5, v17
	v_cmp_eq_u32_e64 s0, 3, v17
	v_and_b32_e32 v15, 0xffff, v20
	v_sub_nc_u32_e32 v20, 0x3f1, v10
	v_and_or_b32 v2, 0xffe, v21, v2
	v_and_or_b32 v4, 0x1ff, v5, v4
	s_or_b32 vcc_lo, s0, vcc_lo
	v_lshl_or_b32 v13, v13, 16, v15
	s_wait_alu 0xfffe
	v_add_co_ci_u32_e32 v14, vcc_lo, 0, v14, vcc_lo
	v_or_b32_e32 v15, 0x1000, v2
	v_med3_i32 v17, v20, 0, 13
	v_cmp_ne_u32_e32 vcc_lo, 0, v0
	v_lshrrev_b32_e32 v21, 8, v5
	v_bfe_u32 v22, v5, 20, 11
	v_add_nc_u32_e32 v10, 0xfffffc10, v10
	v_lshrrev_b32_e32 v20, v17, v15
	s_wait_alu 0xfffd
	v_cndmask_b32_e64 v0, 0, 1, vcc_lo
	v_cmp_gt_i32_e32 vcc_lo, 31, v19
	v_lshrrev_b32_e32 v5, 16, v5
	v_lshlrev_b32_e32 v17, v17, v20
	s_delay_alu instid0(VALU_DEP_4)
	v_lshl_or_b32 v0, v0, 9, 0x7c00
	s_wait_alu 0xfffd
	v_cndmask_b32_e32 v14, 0x7c00, v14, vcc_lo
	v_cmp_ne_u32_e32 vcc_lo, 0, v4
	s_wait_alu 0xfffd
	v_cndmask_b32_e64 v4, 0, 1, vcc_lo
	v_cmp_ne_u32_e32 vcc_lo, v17, v15
	v_sub_nc_u32_e32 v17, 0x3f1, v22
	v_and_or_b32 v8, 0x1ff, v9, v8
	s_delay_alu instid0(VALU_DEP_4)
	v_and_or_b32 v4, 0xffe, v21, v4
	s_wait_alu 0xfffd
	v_cndmask_b32_e64 v15, 0, 1, vcc_lo
	v_cmp_eq_u32_e32 vcc_lo, 0x40f, v19
	v_med3_i32 v17, v17, 0, 13
	v_bfe_u32 v21, v9, 20, 11
	v_or_b32_e32 v19, 0x1000, v4
	s_wait_alu 0xfffd
	v_cndmask_b32_e32 v0, v14, v0, vcc_lo
	v_or_b32_e32 v14, v20, v15
	v_lshl_or_b32 v15, v10, 12, v2
	v_cmp_gt_i32_e32 vcc_lo, 1, v10
	v_lshrrev_b32_e32 v20, 8, v9
	v_and_or_b32 v0, 0x8000, v1, v0
	s_wait_alu 0xfffd
	v_cndmask_b32_e32 v14, v15, v14, vcc_lo
	v_lshrrev_b32_e32 v15, v17, v19
	v_cmp_ne_u32_e32 vcc_lo, 0, v8
	s_delay_alu instid0(VALU_DEP_3) | instskip(NEXT) | instid1(VALU_DEP_3)
	v_and_b32_e32 v23, 7, v14
	v_lshlrev_b32_e32 v17, v17, v15
	s_wait_alu 0xfffd
	v_cndmask_b32_e64 v8, 0, 1, vcc_lo
	v_lshrrev_b32_e32 v14, 2, v14
	v_cmp_lt_i32_e32 vcc_lo, 5, v23
	v_cmp_ne_u32_e64 s0, v17, v19
	s_delay_alu instid0(VALU_DEP_4)
	v_and_or_b32 v1, 0xffe, v20, v8
	v_sub_nc_u32_e32 v8, 0x3f1, v21
	v_add_nc_u32_e32 v20, 0xfffffc10, v22
	s_wait_alu 0xf1ff
	v_cndmask_b32_e64 v17, 0, 1, s0
	v_cmp_eq_u32_e64 s0, 3, v23
	v_or_b32_e32 v19, 0x1000, v1
	v_med3_i32 v8, v8, 0, 13
	v_lshl_or_b32 v22, v20, 12, v4
	v_or_b32_e32 v15, v15, v17
	s_or_b32 vcc_lo, s0, vcc_lo
	s_wait_alu 0xfffe
	v_add_co_ci_u32_e32 v14, vcc_lo, 0, v14, vcc_lo
	v_lshrrev_b32_e32 v17, v8, v19
	v_cmp_gt_i32_e32 vcc_lo, 1, v20
	s_wait_alu 0xfffd
	s_delay_alu instid0(VALU_DEP_2) | instskip(SKIP_3) | instid1(VALU_DEP_3)
	v_dual_cndmask_b32 v15, v22, v15 :: v_dual_lshlrev_b32 v8, v8, v17
	v_cmp_ne_u32_e32 vcc_lo, 0, v2
	s_wait_alu 0xfffd
	v_cndmask_b32_e64 v2, 0, 1, vcc_lo
	v_cmp_ne_u32_e32 vcc_lo, v8, v19
	v_add_nc_u32_e32 v19, 0xfffffc10, v21
	v_and_b32_e32 v21, 7, v15
	s_delay_alu instid0(VALU_DEP_4)
	v_lshl_or_b32 v2, v2, 9, 0x7c00
	s_wait_alu 0xfffd
	v_cndmask_b32_e64 v8, 0, 1, vcc_lo
	v_cmp_gt_i32_e32 vcc_lo, 31, v10
	v_cmp_gt_i32_e64 s1, 1, v19
	v_cmp_eq_u32_e64 s0, 3, v21
	s_delay_alu instid0(VALU_DEP_4)
	v_or_b32_e32 v8, v17, v8
	v_lshl_or_b32 v17, v19, 12, v1
	s_wait_alu 0xfffd
	v_cndmask_b32_e32 v14, 0x7c00, v14, vcc_lo
	v_cmp_lt_i32_e32 vcc_lo, 5, v21
	s_wait_alu 0xf1ff
	v_cndmask_b32_e64 v8, v17, v8, s1
	v_cmp_eq_u32_e64 s1, 0x40f, v10
	v_lshrrev_b32_e32 v10, 2, v15
	s_or_b32 vcc_lo, s0, vcc_lo
	s_delay_alu instid0(VALU_DEP_2) | instskip(SKIP_1) | instid1(VALU_DEP_2)
	v_cndmask_b32_e64 v2, v14, v2, s1
	s_wait_alu 0xfffe
	v_add_co_ci_u32_e32 v10, vcc_lo, 0, v10, vcc_lo
	v_and_b32_e32 v14, 7, v8
	v_cmp_ne_u32_e32 vcc_lo, 0, v4
	v_lshrrev_b32_e32 v8, 2, v8
	v_cmp_gt_i32_e64 s1, 31, v20
	v_and_or_b32 v2, 0x8000, v3, v2
	v_cmp_eq_u32_e64 s0, 3, v14
	s_wait_alu 0xfffd
	v_cndmask_b32_e64 v4, 0, 1, vcc_lo
	v_cmp_lt_i32_e32 vcc_lo, 5, v14
	s_wait_alu 0xf1ff
	v_cndmask_b32_e64 v10, 0x7c00, v10, s1
	v_and_b32_e32 v3, 0xffff, v0
	v_lshl_or_b32 v4, v4, 9, 0x7c00
	s_or_b32 vcc_lo, s0, vcc_lo
	s_wait_alu 0xfffe
	v_add_co_ci_u32_e32 v8, vcc_lo, 0, v8, vcc_lo
	v_cmp_ne_u32_e32 vcc_lo, 0, v1
	s_wait_alu 0xfffd
	v_cndmask_b32_e64 v1, 0, 1, vcc_lo
	v_cmp_eq_u32_e32 vcc_lo, 0x40f, v20
	s_delay_alu instid0(VALU_DEP_2) | instskip(SKIP_3) | instid1(VALU_DEP_2)
	v_lshl_or_b32 v1, v1, 9, 0x7c00
	s_wait_alu 0xfffd
	v_cndmask_b32_e32 v4, v10, v4, vcc_lo
	v_cmp_gt_i32_e32 vcc_lo, 31, v19
	v_and_or_b32 v4, 0x8000, v5, v4
	s_wait_alu 0xfffd
	v_cndmask_b32_e32 v8, 0x7c00, v8, vcc_lo
	v_cmp_eq_u32_e32 vcc_lo, 0x40f, v19
	s_wait_alu 0xfffd
	s_delay_alu instid0(VALU_DEP_2)
	v_dual_cndmask_b32 v5, v8, v1 :: v_dual_and_b32 v4, 0xffff, v4
	v_lshrrev_b32_e32 v8, 16, v9
	v_add_co_u32 v0, vcc_lo, v6, s2
	s_wait_alu 0xfffd
	v_add_co_ci_u32_e32 v1, vcc_lo, s3, v7, vcc_lo
	v_lshl_or_b32 v9, v2, 16, v3
	v_and_or_b32 v5, 0x8000, v8, v5
	v_add_co_u32 v2, vcc_lo, v0, s2
	s_wait_alu 0xfffd
	v_add_co_ci_u32_e32 v3, vcc_lo, s3, v1, vcc_lo
	s_delay_alu instid0(VALU_DEP_3) | instskip(NEXT) | instid1(VALU_DEP_3)
	v_lshl_or_b32 v8, v5, 16, v4
	v_add_co_u32 v4, vcc_lo, v2, s2
	s_wait_alu 0xfffd
	s_delay_alu instid0(VALU_DEP_3)
	v_add_co_ci_u32_e32 v5, vcc_lo, s3, v3, vcc_lo
	global_store_b32 v[11:12], v18, off
	global_store_b32 v[6:7], v16, off
	;; [unrolled: 1-line block ×5, first 2 shown]
.LBB0_10:
	s_nop 0
	s_sendmsg sendmsg(MSG_DEALLOC_VGPRS)
	s_endpgm
	.section	.rodata,"a",@progbits
	.p2align	6, 0x0
	.amdhsa_kernel bluestein_single_fwd_len1188_dim1_half_op_CI_CI
		.amdhsa_group_segment_fixed_size 14256
		.amdhsa_private_segment_fixed_size 8
		.amdhsa_kernarg_size 104
		.amdhsa_user_sgpr_count 2
		.amdhsa_user_sgpr_dispatch_ptr 0
		.amdhsa_user_sgpr_queue_ptr 0
		.amdhsa_user_sgpr_kernarg_segment_ptr 1
		.amdhsa_user_sgpr_dispatch_id 0
		.amdhsa_user_sgpr_private_segment_size 0
		.amdhsa_wavefront_size32 1
		.amdhsa_uses_dynamic_stack 0
		.amdhsa_enable_private_segment 1
		.amdhsa_system_sgpr_workgroup_id_x 1
		.amdhsa_system_sgpr_workgroup_id_y 0
		.amdhsa_system_sgpr_workgroup_id_z 0
		.amdhsa_system_sgpr_workgroup_info 0
		.amdhsa_system_vgpr_workitem_id 0
		.amdhsa_next_free_vgpr 256
		.amdhsa_next_free_sgpr 20
		.amdhsa_reserve_vcc 1
		.amdhsa_float_round_mode_32 0
		.amdhsa_float_round_mode_16_64 0
		.amdhsa_float_denorm_mode_32 3
		.amdhsa_float_denorm_mode_16_64 3
		.amdhsa_fp16_overflow 0
		.amdhsa_workgroup_processor_mode 1
		.amdhsa_memory_ordered 1
		.amdhsa_forward_progress 0
		.amdhsa_round_robin_scheduling 0
		.amdhsa_exception_fp_ieee_invalid_op 0
		.amdhsa_exception_fp_denorm_src 0
		.amdhsa_exception_fp_ieee_div_zero 0
		.amdhsa_exception_fp_ieee_overflow 0
		.amdhsa_exception_fp_ieee_underflow 0
		.amdhsa_exception_fp_ieee_inexact 0
		.amdhsa_exception_int_div_zero 0
	.end_amdhsa_kernel
	.text
.Lfunc_end0:
	.size	bluestein_single_fwd_len1188_dim1_half_op_CI_CI, .Lfunc_end0-bluestein_single_fwd_len1188_dim1_half_op_CI_CI
                                        ; -- End function
	.section	.AMDGPU.csdata,"",@progbits
; Kernel info:
; codeLenInByte = 37984
; NumSgprs: 22
; NumVgprs: 256
; ScratchSize: 8
; MemoryBound: 0
; FloatMode: 240
; IeeeMode: 1
; LDSByteSize: 14256 bytes/workgroup (compile time only)
; SGPRBlocks: 2
; VGPRBlocks: 31
; NumSGPRsForWavesPerEU: 22
; NumVGPRsForWavesPerEU: 256
; Occupancy: 5
; WaveLimiterHint : 1
; COMPUTE_PGM_RSRC2:SCRATCH_EN: 1
; COMPUTE_PGM_RSRC2:USER_SGPR: 2
; COMPUTE_PGM_RSRC2:TRAP_HANDLER: 0
; COMPUTE_PGM_RSRC2:TGID_X_EN: 1
; COMPUTE_PGM_RSRC2:TGID_Y_EN: 0
; COMPUTE_PGM_RSRC2:TGID_Z_EN: 0
; COMPUTE_PGM_RSRC2:TIDIG_COMP_CNT: 0
	.text
	.p2alignl 7, 3214868480
	.fill 96, 4, 3214868480
	.type	__hip_cuid_de7c8013a2fa361b,@object ; @__hip_cuid_de7c8013a2fa361b
	.section	.bss,"aw",@nobits
	.globl	__hip_cuid_de7c8013a2fa361b
__hip_cuid_de7c8013a2fa361b:
	.byte	0                               ; 0x0
	.size	__hip_cuid_de7c8013a2fa361b, 1

	.ident	"AMD clang version 19.0.0git (https://github.com/RadeonOpenCompute/llvm-project roc-6.4.0 25133 c7fe45cf4b819c5991fe208aaa96edf142730f1d)"
	.section	".note.GNU-stack","",@progbits
	.addrsig
	.addrsig_sym __hip_cuid_de7c8013a2fa361b
	.amdgpu_metadata
---
amdhsa.kernels:
  - .args:
      - .actual_access:  read_only
        .address_space:  global
        .offset:         0
        .size:           8
        .value_kind:     global_buffer
      - .actual_access:  read_only
        .address_space:  global
        .offset:         8
        .size:           8
        .value_kind:     global_buffer
      - .actual_access:  read_only
        .address_space:  global
        .offset:         16
        .size:           8
        .value_kind:     global_buffer
      - .actual_access:  read_only
        .address_space:  global
        .offset:         24
        .size:           8
        .value_kind:     global_buffer
      - .actual_access:  read_only
        .address_space:  global
        .offset:         32
        .size:           8
        .value_kind:     global_buffer
      - .offset:         40
        .size:           8
        .value_kind:     by_value
      - .address_space:  global
        .offset:         48
        .size:           8
        .value_kind:     global_buffer
      - .address_space:  global
        .offset:         56
        .size:           8
        .value_kind:     global_buffer
      - .address_space:  global
        .offset:         64
        .size:           8
        .value_kind:     global_buffer
      - .address_space:  global
        .offset:         72
        .size:           8
        .value_kind:     global_buffer
      - .offset:         80
        .size:           4
        .value_kind:     by_value
      - .address_space:  global
        .offset:         88
        .size:           8
        .value_kind:     global_buffer
      - .address_space:  global
        .offset:         96
        .size:           8
        .value_kind:     global_buffer
    .group_segment_fixed_size: 14256
    .kernarg_segment_align: 8
    .kernarg_segment_size: 104
    .language:       OpenCL C
    .language_version:
      - 2
      - 0
    .max_flat_workgroup_size: 198
    .name:           bluestein_single_fwd_len1188_dim1_half_op_CI_CI
    .private_segment_fixed_size: 8
    .sgpr_count:     22
    .sgpr_spill_count: 0
    .symbol:         bluestein_single_fwd_len1188_dim1_half_op_CI_CI.kd
    .uniform_work_group_size: 1
    .uses_dynamic_stack: false
    .vgpr_count:     256
    .vgpr_spill_count: 1
    .wavefront_size: 32
    .workgroup_processor_mode: 1
amdhsa.target:   amdgcn-amd-amdhsa--gfx1201
amdhsa.version:
  - 1
  - 2
...

	.end_amdgpu_metadata
